;; amdgpu-corpus repo=vllm-project/vllm kind=compiled arch=gfx942 opt=O3
	.text
	.amdgcn_target "amdgcn-amd-amdhsa--gfx942"
	.amdhsa_code_object_version 6
	.section	.text._ZN4vllm24merge_attn_states_kernelIfN3c1013Float8_e4m3fnELj128ELb1EEEvPT0_PfPKT_PKfS8_SA_jjjjjjSA_,"axG",@progbits,_ZN4vllm24merge_attn_states_kernelIfN3c1013Float8_e4m3fnELj128ELb1EEEvPT0_PfPKT_PKfS8_SA_jjjjjjSA_,comdat
	.protected	_ZN4vllm24merge_attn_states_kernelIfN3c1013Float8_e4m3fnELj128ELb1EEEvPT0_PfPKT_PKfS8_SA_jjjjjjSA_ ; -- Begin function _ZN4vllm24merge_attn_states_kernelIfN3c1013Float8_e4m3fnELj128ELb1EEEvPT0_PfPKT_PKfS8_SA_jjjjjjSA_
	.globl	_ZN4vllm24merge_attn_states_kernelIfN3c1013Float8_e4m3fnELj128ELb1EEEvPT0_PfPKT_PKfS8_SA_jjjjjjSA_
	.p2align	8
	.type	_ZN4vllm24merge_attn_states_kernelIfN3c1013Float8_e4m3fnELj128ELb1EEEvPT0_PfPKT_PKfS8_SA_jjjjjjSA_,@function
_ZN4vllm24merge_attn_states_kernelIfN3c1013Float8_e4m3fnELj128ELb1EEEvPT0_PfPKT_PKfS8_SA_jjjjjjSA_: ; @_ZN4vllm24merge_attn_states_kernelIfN3c1013Float8_e4m3fnELj128ELb1EEEvPT0_PfPKT_PKfS8_SA_jjjjjjSA_
; %bb.0:
	s_load_dwordx4 s[12:15], s[0:1], 0x30
	v_lshl_add_u32 v0, s2, 7, v0
	s_waitcnt lgkmcnt(0)
	s_lshr_b32 s2, s14, 2
	s_mul_i32 s3, s13, s12
	s_mul_i32 s3, s3, s2
	v_cmp_gt_u32_e32 vcc, s3, v0
	s_and_saveexec_b64 s[4:5], vcc
	s_cbranch_execz .LBB0_91
; %bb.1:
	v_cvt_f32_u32_e32 v1, s2
	s_load_dwordx8 s[4:11], s[0:1], 0x0
	s_load_dwordx4 s[20:23], s[0:1], 0x40
	s_load_dwordx4 s[16:19], s[0:1], 0x20
	s_sub_i32 s0, 0, s2
	v_rcp_iflag_f32_e32 v1, v1
	v_cvt_f32_u32_e32 v2, s13
	s_waitcnt lgkmcnt(0)
	v_mov_b32_e32 v10, s16
	v_mul_f32_e32 v1, 0x4f7ffffe, v1
	v_cvt_u32_f32_e32 v1, v1
	v_rcp_iflag_f32_e32 v2, v2
	v_mov_b32_e32 v11, s17
	v_mul_lo_u32 v3, s0, v1
	v_mul_hi_u32 v3, v1, v3
	v_add_u32_e32 v1, v1, v3
	v_mul_hi_u32 v1, v0, v1
	v_mul_lo_u32 v3, v1, s2
	v_sub_u32_e32 v3, v0, v3
	v_add_u32_e32 v4, 1, v1
	v_cmp_le_u32_e32 vcc, s2, v3
	v_mul_f32_e32 v2, 0x4f7ffffe, v2
	v_cvt_u32_f32_e32 v2, v2
	v_cndmask_b32_e32 v1, v1, v4, vcc
	v_subrev_u32_e32 v4, s2, v3
	v_cndmask_b32_e32 v3, v3, v4, vcc
	v_add_u32_e32 v4, 1, v1
	v_cmp_le_u32_e32 vcc, s2, v3
	s_sub_i32 s0, 0, s13
	s_nop 0
	v_cndmask_b32_e32 v1, v1, v4, vcc
	v_mul_lo_u32 v3, v1, s2
	v_sub_u32_e32 v8, v0, v3
	v_mul_lo_u32 v0, s0, v2
	v_mul_hi_u32 v0, v2, v0
	v_add_u32_e32 v0, v2, v0
	s_load_dword s2, s[22:23], 0x0
	v_mul_hi_u32 v0, v1, v0
	v_mul_lo_u32 v2, v0, s13
	v_sub_u32_e32 v2, v1, v2
	v_add_u32_e32 v3, 1, v0
	v_cmp_le_u32_e32 vcc, s13, v2
	s_waitcnt lgkmcnt(0)
	v_div_scale_f32 v7, s[0:1], s2, s2, 1.0
	v_cndmask_b32_e32 v0, v0, v3, vcc
	v_subrev_u32_e32 v3, s13, v2
	v_cndmask_b32_e32 v2, v2, v3, vcc
	v_rcp_f32_e32 v9, v7
	v_add_u32_e32 v3, 1, v0
	v_cmp_le_u32_e32 vcc, s13, v2
	v_mul_lo_u32 v2, v1, s15
	v_mul_lo_u32 v12, v1, s20
	v_cndmask_b32_e32 v4, v0, v3, vcc
	v_mov_b32_e32 v3, 0
	v_mul_lo_u32 v0, v4, s13
	v_mov_b32_e32 v13, v3
	v_sub_u32_e32 v5, v1, v0
	v_lshl_add_u64 v[0:1], v[2:3], 2, v[10:11]
	v_lshl_add_u64 v[10:11], s[4:5], 0, v[12:13]
	v_fma_f32 v12, -v7, v9, 1.0
	v_fmac_f32_e32 v9, v12, v9
	v_div_scale_f32 v12, vcc, 1.0, s2, 1.0
	v_mul_f32_e32 v13, v12, v9
	v_fma_f32 v14, -v7, v13, v12
	v_fmac_f32_e32 v13, v14, v9
	v_fma_f32 v7, -v7, v13, v12
	v_div_fmas_f32 v7, v7, v9, v13
	v_lshlrev_b32_e32 v6, 2, v8
	v_div_fixup_f32 v14, v7, s2, 1.0
	v_cmp_le_u32_e32 vcc, s21, v4
	s_and_saveexec_b64 s[0:1], vcc
	s_xor_b64 s[0:1], exec, s[0:1]
	s_cbranch_execz .LBB0_31
; %bb.2:
	v_cmp_gt_u32_e32 vcc, s14, v6
	s_and_saveexec_b64 s[2:3], vcc
	s_cbranch_execz .LBB0_28
; %bb.3:
	v_mov_b32_e32 v9, 0
	v_lshl_add_u64 v[0:1], v[8:9], 4, v[0:1]
	global_load_dwordx4 v[0:3], v[0:1], off
	s_mov_b32 s13, 0x43f00000
	v_mov_b32_e32 v6, 0x7f
	v_mov_b32_e32 v7, 0x7f
	s_waitcnt vmcnt(0)
	v_mul_f32_e32 v0, v14, v0
	v_min_f32_e32 v0, 0x43e00000, v0
	v_max_f32_e32 v0, 0xc3e00000, v0
	v_and_b32_e32 v12, 0x7fffffff, v0
	v_cmp_gt_u32_e32 vcc, s13, v12
	s_and_saveexec_b64 s[4:5], vcc
	s_cbranch_execz .LBB0_9
; %bb.4:
	s_mov_b32 s15, 0x3c7fffff
	v_cmp_lt_u32_e32 vcc, s15, v12
                                        ; implicit-def: $vgpr7
	s_and_saveexec_b64 s[16:17], vcc
	s_xor_b64 s[16:17], exec, s[16:17]
; %bb.5:
	v_bfe_u32 v7, v0, 20, 1
	s_mov_b32 s15, 0x407ffff
	v_add3_u32 v7, v0, v7, s15
	v_lshrrev_b32_e32 v7, 20, v7
; %bb.6:
	s_andn2_saveexec_b64 s[16:17], s[16:17]
; %bb.7:
	s_mov_b32 s15, 0x46800000
	v_add_f32_e64 v7, |v0|, s15
; %bb.8:
	s_or_b64 exec, exec, s[16:17]
.LBB0_9:
	s_or_b64 exec, exec, s[4:5]
	v_mul_f32_e32 v1, v14, v1
	v_min_f32_e32 v1, 0x43e00000, v1
	v_max_f32_e32 v1, 0xc3e00000, v1
	v_and_b32_e32 v12, 0x7fffffff, v1
	v_cmp_gt_u32_e32 vcc, s13, v12
	s_and_saveexec_b64 s[4:5], vcc
	s_cbranch_execz .LBB0_15
; %bb.10:
	s_mov_b32 s13, 0x3c7fffff
	v_cmp_lt_u32_e32 vcc, s13, v12
                                        ; implicit-def: $vgpr6
	s_and_saveexec_b64 s[16:17], vcc
	s_xor_b64 s[16:17], exec, s[16:17]
; %bb.11:
	v_bfe_u32 v6, v1, 20, 1
	s_mov_b32 s13, 0x407ffff
	v_add3_u32 v6, v1, v6, s13
	v_lshrrev_b32_e32 v6, 20, v6
; %bb.12:
	s_andn2_saveexec_b64 s[16:17], s[16:17]
; %bb.13:
	s_mov_b32 s13, 0x46800000
	v_add_f32_e64 v6, |v1|, s13
; %bb.14:
	s_or_b64 exec, exec, s[16:17]
.LBB0_15:
	s_or_b64 exec, exec, s[4:5]
	v_mul_f32_e32 v2, v14, v2
	v_min_f32_e32 v2, 0x43e00000, v2
	v_max_f32_e32 v2, 0xc3e00000, v2
	v_and_b32_e32 v15, 0x7fffffff, v2
	s_mov_b32 s13, 0x43f00000
	v_cmp_gt_u32_e32 vcc, s13, v15
	v_mov_b32_e32 v13, 0x7f
	v_mov_b32_e32 v12, 0x7f
	s_and_saveexec_b64 s[4:5], vcc
	s_cbranch_execz .LBB0_21
; %bb.16:
	s_mov_b32 s15, 0x3c7fffff
	v_cmp_lt_u32_e32 vcc, s15, v15
                                        ; implicit-def: $vgpr12
	s_and_saveexec_b64 s[16:17], vcc
	s_xor_b64 s[16:17], exec, s[16:17]
; %bb.17:
	v_bfe_u32 v12, v2, 20, 1
	s_mov_b32 s15, 0x407ffff
	v_add3_u32 v12, v2, v12, s15
	v_lshrrev_b32_e32 v12, 20, v12
; %bb.18:
	s_andn2_saveexec_b64 s[16:17], s[16:17]
; %bb.19:
	s_mov_b32 s15, 0x46800000
	v_add_f32_e64 v12, |v2|, s15
; %bb.20:
	s_or_b64 exec, exec, s[16:17]
.LBB0_21:
	s_or_b64 exec, exec, s[4:5]
	v_mul_f32_e32 v3, v14, v3
	v_min_f32_e32 v3, 0x43e00000, v3
	v_max_f32_e32 v3, 0xc3e00000, v3
	v_and_b32_e32 v14, 0x7fffffff, v3
	v_cmp_gt_u32_e32 vcc, s13, v14
	s_and_saveexec_b64 s[4:5], vcc
	s_cbranch_execz .LBB0_27
; %bb.22:
	s_mov_b32 s13, 0x3c7fffff
	v_cmp_lt_u32_e32 vcc, s13, v14
                                        ; implicit-def: $vgpr13
	s_and_saveexec_b64 s[16:17], vcc
	s_xor_b64 s[16:17], exec, s[16:17]
; %bb.23:
	v_bfe_u32 v13, v3, 20, 1
	s_mov_b32 s13, 0x407ffff
	v_add3_u32 v13, v3, v13, s13
	v_lshrrev_b32_e32 v13, 20, v13
; %bb.24:
	s_andn2_saveexec_b64 s[16:17], s[16:17]
; %bb.25:
	s_mov_b32 s13, 0x46800000
	v_add_f32_e64 v13, |v3|, s13
; %bb.26:
	s_or_b64 exec, exec, s[16:17]
.LBB0_27:
	s_or_b64 exec, exec, s[4:5]
	s_movk_i32 s4, 0x80
	v_and_b32_sdwa v2, v2, s4 dst_sel:DWORD dst_unused:UNUSED_PAD src0_sel:BYTE_3 src1_sel:DWORD
	v_and_b32_sdwa v1, v1, s4 dst_sel:DWORD dst_unused:UNUSED_PAD src0_sel:BYTE_3 src1_sel:DWORD
	v_and_b32_sdwa v0, v0, s4 dst_sel:DWORD dst_unused:UNUSED_PAD src0_sel:BYTE_3 src1_sel:DWORD
	s_movk_i32 s4, 0xff
	v_and_or_b32 v2, v12, s4, v2
	v_lshlrev_b32_e32 v13, 24, v13
	v_and_b32_e32 v3, 0x80000000, v3
	v_lshlrev_b32_e32 v2, 16, v2
	v_and_or_b32 v1, v6, s4, v1
	v_or3_b32 v2, v3, v13, v2
	v_lshlrev_b32_e32 v1, 8, v1
	v_and_or_b32 v0, v7, s4, v0
	v_or3_b32 v2, v2, v1, v0
	v_lshl_add_u64 v[0:1], v[8:9], 2, v[10:11]
	global_store_dword v[0:1], v2, off
.LBB0_28:
	s_or_b64 exec, exec, s[2:3]
	s_cmp_lg_u64 s[6:7], 0
	s_cselect_b64 s[2:3], -1, 0
	v_cmp_eq_u32_e32 vcc, 0, v8
	s_and_b64 s[4:5], s[2:3], vcc
	s_and_saveexec_b64 s[2:3], s[4:5]
	s_cbranch_execz .LBB0_30
; %bb.29:
	v_mad_u64_u32 v[0:1], s[4:5], v5, s12, v[4:5]
	v_mov_b32_e32 v1, 0
	v_lshlrev_b64 v[0:1], 2, v[0:1]
	v_lshl_add_u64 v[2:3], s[18:19], 0, v[0:1]
	global_load_dword v2, v[2:3], off
	v_lshl_add_u64 v[0:1], s[6:7], 0, v[0:1]
	s_waitcnt vmcnt(0)
	global_store_dword v[0:1], v2, off
.LBB0_30:
	s_or_b64 exec, exec, s[2:3]
                                        ; implicit-def: $vgpr2_vgpr3
                                        ; implicit-def: $vgpr4
                                        ; implicit-def: $vgpr5
                                        ; implicit-def: $vgpr8
                                        ; implicit-def: $vgpr6
                                        ; implicit-def: $vgpr10_vgpr11
                                        ; implicit-def: $vgpr14
                                        ; implicit-def: $vgpr0_vgpr1
.LBB0_31:
	s_andn2_saveexec_b64 s[0:1], s[0:1]
	s_cbranch_execz .LBB0_91
; %bb.32:
	v_mad_u64_u32 v[12:13], s[0:1], v5, s12, v[4:5]
	v_mov_b32_e32 v13, 0
	v_lshlrev_b64 v[4:5], 2, v[12:13]
	v_lshl_add_u64 v[16:17], s[10:11], 0, v[4:5]
	global_load_dword v7, v[16:17], off
	v_lshl_add_u64 v[4:5], s[18:19], 0, v[4:5]
	global_load_dword v9, v[4:5], off
	s_mov_b32 s0, 0x7f800000
	v_mov_b32_e32 v4, s8
	v_mov_b32_e32 v5, s9
	;; [unrolled: 1-line block ×3, first 2 shown]
	v_lshl_add_u64 v[2:3], v[2:3], 2, v[4:5]
	s_waitcnt vmcnt(1)
	v_cmp_neq_f32_e64 vcc, |v7|, s0
	s_nop 1
	v_cndmask_b32_e32 v5, v15, v7, vcc
	s_waitcnt vmcnt(0)
	v_cmp_neq_f32_e64 vcc, |v9|, s0
	v_max_f32_e32 v7, v5, v5
	s_nop 0
	v_cndmask_b32_e32 v4, v15, v9, vcc
	v_max_f32_e32 v9, v4, v4
	v_max_f32_e32 v15, v7, v9
	v_cmp_neq_f32_e64 s[0:1], |v15|, s0
	s_and_saveexec_b64 s[2:3], s[0:1]
	s_xor_b64 s[2:3], exec, s[2:3]
	s_cbranch_execz .LBB0_62
; %bb.33:
	v_sub_f32_e32 v5, v5, v15
	s_mov_b32 s0, 0x3fb8aa3b
	v_mul_f32_e32 v7, 0x3fb8aa3b, v5
	v_fma_f32 v9, v5, s0, -v7
	v_rndne_f32_e32 v16, v7
	v_fmac_f32_e32 v9, 0x32a5705f, v5
	v_sub_f32_e32 v7, v7, v16
	v_add_f32_e32 v7, v7, v9
	v_exp_f32_e32 v7, v7
	v_cvt_i32_f32_e32 v9, v16
	v_sub_f32_e32 v4, v4, v15
	s_mov_b32 s1, 0xc2ce8ed0
	v_cmp_ngt_f32_e32 vcc, s1, v5
	v_ldexp_f32 v7, v7, v9
	v_mul_f32_e32 v9, 0x3fb8aa3b, v4
	v_fma_f32 v16, v4, s0, -v9
	v_rndne_f32_e32 v17, v9
	v_fmac_f32_e32 v16, 0x32a5705f, v4
	v_sub_f32_e32 v9, v9, v17
	v_add_f32_e32 v9, v9, v16
	v_exp_f32_e32 v9, v9
	v_cvt_i32_f32_e32 v16, v17
	s_mov_b32 s4, 0x42b17218
	v_cndmask_b32_e32 v7, 0, v7, vcc
	v_mov_b32_e32 v17, 0x7f800000
	v_cmp_nlt_f32_e32 vcc, s4, v5
	v_ldexp_f32 v5, v9, v16
	s_nop 0
	v_cndmask_b32_e32 v19, v17, v7, vcc
	v_cmp_ngt_f32_e32 vcc, s1, v4
	s_nop 1
	v_cndmask_b32_e32 v5, 0, v5, vcc
	v_cmp_nlt_f32_e32 vcc, s4, v4
	s_nop 1
	v_cndmask_b32_e32 v18, v17, v5, vcc
	v_add_f32_e32 v16, v19, v18
	v_cmp_gt_u32_e32 vcc, s14, v6
	s_and_saveexec_b64 s[4:5], vcc
	s_cbranch_execz .LBB0_59
; %bb.34:
	v_mov_b32_e32 v9, 0
	v_lshlrev_b64 v[4:5], 4, v[8:9]
	v_lshl_add_u64 v[22:23], v[0:1], 0, v[4:5]
	v_lshl_add_u64 v[20:21], v[2:3], 0, v[4:5]
	global_load_dwordx4 v[4:7], v[22:23], off
	global_load_dwordx4 v[0:3], v[20:21], off
	v_div_scale_f32 v20, s[0:1], v16, v16, v18
	v_div_scale_f32 v22, s[0:1], v16, v16, v19
	v_rcp_f32_e32 v24, v20
	v_rcp_f32_e32 v25, v22
	v_div_scale_f32 v21, vcc, v18, v16, v18
	v_fma_f32 v26, -v20, v24, 1.0
	v_fma_f32 v27, -v22, v25, 1.0
	v_fmac_f32_e32 v24, v26, v24
	v_div_scale_f32 v23, s[0:1], v19, v16, v19
	v_fmac_f32_e32 v25, v27, v25
	v_mul_f32_e32 v26, v21, v24
	v_mul_f32_e32 v27, v23, v25
	v_fma_f32 v28, -v20, v26, v21
	v_fma_f32 v29, -v22, v27, v23
	v_fmac_f32_e32 v26, v28, v24
	v_fmac_f32_e32 v27, v29, v25
	v_fma_f32 v20, -v20, v26, v21
	v_fma_f32 v21, -v22, v27, v23
	v_div_fmas_f32 v20, v20, v24, v26
	s_mov_b64 vcc, s[0:1]
	v_div_fixup_f32 v18, v20, v16, v18
	v_div_fmas_f32 v20, v21, v25, v27
	v_div_fixup_f32 v19, v20, v16, v19
	s_mov_b32 s10, 0x43f00000
	v_mov_b32_e32 v17, 0x7f
	s_waitcnt vmcnt(1)
	v_mul_f32_e32 v4, v18, v4
	s_waitcnt vmcnt(0)
	v_fmac_f32_e32 v4, v19, v0
	v_mul_f32_e32 v0, v14, v4
	v_min_f32_e32 v0, 0x43e00000, v0
	v_max_f32_e32 v0, 0xc3e00000, v0
	v_and_b32_e32 v20, 0x7fffffff, v0
	v_cmp_gt_u32_e32 vcc, s10, v20
	v_mov_b32_e32 v4, 0x7f
	s_and_saveexec_b64 s[0:1], vcc
	s_cbranch_execz .LBB0_40
; %bb.35:
	s_mov_b32 s8, 0x3c7fffff
	v_cmp_lt_u32_e32 vcc, s8, v20
                                        ; implicit-def: $vgpr4
	s_and_saveexec_b64 s[8:9], vcc
	s_xor_b64 s[8:9], exec, s[8:9]
; %bb.36:
	v_bfe_u32 v4, v0, 20, 1
	s_mov_b32 s11, 0x407ffff
	v_add3_u32 v4, v0, v4, s11
	v_lshrrev_b32_e32 v4, 20, v4
; %bb.37:
	s_andn2_saveexec_b64 s[8:9], s[8:9]
; %bb.38:
	s_mov_b32 s11, 0x46800000
	v_add_f32_e64 v4, |v0|, s11
; %bb.39:
	s_or_b64 exec, exec, s[8:9]
.LBB0_40:
	s_or_b64 exec, exec, s[0:1]
	v_mul_f32_e32 v5, v18, v5
	v_fmac_f32_e32 v5, v19, v1
	v_mul_f32_e32 v1, v14, v5
	v_min_f32_e32 v1, 0x43e00000, v1
	v_max_f32_e32 v1, 0xc3e00000, v1
	v_and_b32_e32 v5, 0x7fffffff, v1
	v_cmp_gt_u32_e32 vcc, s10, v5
	s_and_saveexec_b64 s[0:1], vcc
	s_cbranch_execz .LBB0_46
; %bb.41:
	s_mov_b32 s8, 0x3c7fffff
	v_cmp_lt_u32_e32 vcc, s8, v5
                                        ; implicit-def: $vgpr17
	s_and_saveexec_b64 s[8:9], vcc
	s_xor_b64 s[8:9], exec, s[8:9]
; %bb.42:
	v_bfe_u32 v5, v1, 20, 1
	s_mov_b32 s10, 0x407ffff
	v_add3_u32 v5, v1, v5, s10
	v_lshrrev_b32_e32 v17, 20, v5
; %bb.43:
	s_andn2_saveexec_b64 s[8:9], s[8:9]
; %bb.44:
	s_mov_b32 s10, 0x46800000
	v_add_f32_e64 v17, |v1|, s10
; %bb.45:
	s_or_b64 exec, exec, s[8:9]
.LBB0_46:
	s_or_b64 exec, exec, s[0:1]
	v_mul_f32_e32 v5, v18, v6
	v_fmac_f32_e32 v5, v19, v2
	v_mul_f32_e32 v2, v14, v5
	v_min_f32_e32 v2, 0x43e00000, v2
	v_max_f32_e32 v2, 0xc3e00000, v2
	v_and_b32_e32 v20, 0x7fffffff, v2
	s_mov_b32 s10, 0x43f00000
	v_cmp_gt_u32_e32 vcc, s10, v20
	v_mov_b32_e32 v6, 0x7f
	v_mov_b32_e32 v5, 0x7f
	s_and_saveexec_b64 s[0:1], vcc
	s_cbranch_execz .LBB0_52
; %bb.47:
	s_mov_b32 s8, 0x3c7fffff
	v_cmp_lt_u32_e32 vcc, s8, v20
                                        ; implicit-def: $vgpr5
	s_and_saveexec_b64 s[8:9], vcc
	s_xor_b64 s[8:9], exec, s[8:9]
; %bb.48:
	v_bfe_u32 v5, v2, 20, 1
	s_mov_b32 s11, 0x407ffff
	v_add3_u32 v5, v2, v5, s11
	v_lshrrev_b32_e32 v5, 20, v5
; %bb.49:
	s_andn2_saveexec_b64 s[8:9], s[8:9]
; %bb.50:
	s_mov_b32 s11, 0x46800000
	v_add_f32_e64 v5, |v2|, s11
; %bb.51:
	s_or_b64 exec, exec, s[8:9]
.LBB0_52:
	s_or_b64 exec, exec, s[0:1]
	v_mul_f32_e32 v7, v18, v7
	v_fmac_f32_e32 v7, v19, v3
	v_mul_f32_e32 v3, v14, v7
	v_min_f32_e32 v3, 0x43e00000, v3
	v_max_f32_e32 v3, 0xc3e00000, v3
	v_and_b32_e32 v7, 0x7fffffff, v3
	v_cmp_gt_u32_e32 vcc, s10, v7
	s_and_saveexec_b64 s[0:1], vcc
	s_cbranch_execz .LBB0_58
; %bb.53:
	s_mov_b32 s8, 0x3c7fffff
	v_cmp_lt_u32_e32 vcc, s8, v7
                                        ; implicit-def: $vgpr6
	s_and_saveexec_b64 s[8:9], vcc
	s_xor_b64 s[8:9], exec, s[8:9]
; %bb.54:
	v_bfe_u32 v6, v3, 20, 1
	s_mov_b32 s10, 0x407ffff
	v_add3_u32 v6, v3, v6, s10
	v_lshrrev_b32_e32 v6, 20, v6
; %bb.55:
	s_andn2_saveexec_b64 s[8:9], s[8:9]
; %bb.56:
	s_mov_b32 s10, 0x46800000
	v_add_f32_e64 v6, |v3|, s10
; %bb.57:
	s_or_b64 exec, exec, s[8:9]
.LBB0_58:
	s_or_b64 exec, exec, s[0:1]
	s_movk_i32 s0, 0x80
	v_and_b32_sdwa v2, v2, s0 dst_sel:DWORD dst_unused:UNUSED_PAD src0_sel:BYTE_3 src1_sel:DWORD
	v_and_b32_sdwa v1, v1, s0 dst_sel:DWORD dst_unused:UNUSED_PAD src0_sel:BYTE_3 src1_sel:DWORD
	;; [unrolled: 1-line block ×3, first 2 shown]
	s_movk_i32 s0, 0xff
	v_and_or_b32 v2, v5, s0, v2
	v_lshlrev_b32_e32 v6, 24, v6
	v_and_b32_e32 v3, 0x80000000, v3
	v_lshlrev_b32_e32 v2, 16, v2
	v_and_or_b32 v1, v17, s0, v1
	v_or3_b32 v2, v3, v6, v2
	v_lshlrev_b32_e32 v1, 8, v1
	v_and_or_b32 v0, v4, s0, v0
	v_or3_b32 v2, v2, v1, v0
	v_lshl_add_u64 v[0:1], v[8:9], 2, v[10:11]
	global_store_dword v[0:1], v2, off
.LBB0_59:
	s_or_b64 exec, exec, s[4:5]
	s_cmp_lg_u64 s[6:7], 0
	s_cselect_b64 s[0:1], -1, 0
	v_cmp_eq_u32_e32 vcc, 0, v8
	s_and_b64 s[0:1], s[0:1], vcc
	s_and_saveexec_b64 s[4:5], s[0:1]
	s_cbranch_execz .LBB0_61
; %bb.60:
	s_mov_b32 s0, 0x800000
	v_mov_b32_e32 v0, 0x4f800000
	v_cmp_gt_f32_e32 vcc, s0, v16
	s_mov_b32 s0, 0x3f317217
	s_nop 0
	v_cndmask_b32_e32 v0, 1.0, v0, vcc
	v_mul_f32_e32 v0, v16, v0
	v_log_f32_e32 v2, v0
	v_lshl_add_u64 v[0:1], v[12:13], 2, s[6:7]
	v_mul_f32_e32 v3, 0x3f317217, v2
	v_fma_f32 v4, v2, s0, -v3
	v_fmamk_f32 v4, v2, 0x3377d1cf, v4
	s_mov_b32 s0, 0x7f800000
	v_add_f32_e32 v3, v3, v4
	v_cmp_lt_f32_e64 s[0:1], |v2|, s0
	s_nop 1
	v_cndmask_b32_e64 v2, v2, v3, s[0:1]
	v_mov_b32_e32 v3, 0x41b17218
	v_cndmask_b32_e32 v3, 0, v3, vcc
	v_sub_f32_e32 v2, v2, v3
	v_add_f32_e32 v2, v15, v2
	global_store_dword v[0:1], v2, off
.LBB0_61:
	s_or_b64 exec, exec, s[4:5]
                                        ; implicit-def: $vgpr8
                                        ; implicit-def: $vgpr12_vgpr13
                                        ; implicit-def: $vgpr15
                                        ; implicit-def: $vgpr6
                                        ; implicit-def: $vgpr10_vgpr11
                                        ; implicit-def: $vgpr14
                                        ; implicit-def: $vgpr2_vgpr3
.LBB0_62:
	s_andn2_saveexec_b64 s[0:1], s[2:3]
	s_cbranch_execz .LBB0_91
; %bb.63:
	v_cmp_gt_u32_e32 vcc, s14, v6
	s_and_saveexec_b64 s[0:1], vcc
	s_cbranch_execz .LBB0_89
; %bb.64:
	v_mov_b32_e32 v9, 0
	v_lshl_add_u64 v[0:1], v[8:9], 4, v[2:3]
	global_load_dwordx4 v[0:3], v[0:1], off
	s_mov_b32 s8, 0x43f00000
	v_mov_b32_e32 v4, 0x7f
	v_mov_b32_e32 v5, 0x7f
	s_waitcnt vmcnt(0)
	v_mul_f32_e32 v0, v14, v0
	v_min_f32_e32 v0, 0x43e00000, v0
	v_max_f32_e32 v0, 0xc3e00000, v0
	v_and_b32_e32 v6, 0x7fffffff, v0
	v_cmp_gt_u32_e32 vcc, s8, v6
	s_and_saveexec_b64 s[2:3], vcc
	s_cbranch_execz .LBB0_70
; %bb.65:
	s_mov_b32 s4, 0x3c7fffff
	v_cmp_lt_u32_e32 vcc, s4, v6
                                        ; implicit-def: $vgpr5
	s_and_saveexec_b64 s[4:5], vcc
	s_xor_b64 s[4:5], exec, s[4:5]
; %bb.66:
	v_bfe_u32 v5, v0, 20, 1
	s_mov_b32 s9, 0x407ffff
	v_add3_u32 v5, v0, v5, s9
	v_lshrrev_b32_e32 v5, 20, v5
; %bb.67:
	s_andn2_saveexec_b64 s[4:5], s[4:5]
; %bb.68:
	s_mov_b32 s9, 0x46800000
	v_add_f32_e64 v5, |v0|, s9
; %bb.69:
	s_or_b64 exec, exec, s[4:5]
.LBB0_70:
	s_or_b64 exec, exec, s[2:3]
	v_mul_f32_e32 v1, v14, v1
	v_min_f32_e32 v1, 0x43e00000, v1
	v_max_f32_e32 v1, 0xc3e00000, v1
	v_and_b32_e32 v6, 0x7fffffff, v1
	v_cmp_gt_u32_e32 vcc, s8, v6
	s_and_saveexec_b64 s[2:3], vcc
	s_cbranch_execz .LBB0_76
; %bb.71:
	s_mov_b32 s4, 0x3c7fffff
	v_cmp_lt_u32_e32 vcc, s4, v6
                                        ; implicit-def: $vgpr4
	s_and_saveexec_b64 s[4:5], vcc
	s_xor_b64 s[4:5], exec, s[4:5]
; %bb.72:
	v_bfe_u32 v4, v1, 20, 1
	s_mov_b32 s8, 0x407ffff
	v_add3_u32 v4, v1, v4, s8
	v_lshrrev_b32_e32 v4, 20, v4
; %bb.73:
	s_andn2_saveexec_b64 s[4:5], s[4:5]
; %bb.74:
	s_mov_b32 s8, 0x46800000
	v_add_f32_e64 v4, |v1|, s8
; %bb.75:
	s_or_b64 exec, exec, s[4:5]
.LBB0_76:
	s_or_b64 exec, exec, s[2:3]
	v_mul_f32_e32 v2, v14, v2
	v_min_f32_e32 v2, 0x43e00000, v2
	v_max_f32_e32 v2, 0xc3e00000, v2
	v_and_b32_e32 v16, 0x7fffffff, v2
	s_mov_b32 s8, 0x43f00000
	v_cmp_gt_u32_e32 vcc, s8, v16
	v_mov_b32_e32 v7, 0x7f
	v_mov_b32_e32 v6, 0x7f
	s_and_saveexec_b64 s[2:3], vcc
	s_cbranch_execz .LBB0_82
; %bb.77:
	s_mov_b32 s4, 0x3c7fffff
	v_cmp_lt_u32_e32 vcc, s4, v16
                                        ; implicit-def: $vgpr6
	s_and_saveexec_b64 s[4:5], vcc
	s_xor_b64 s[4:5], exec, s[4:5]
; %bb.78:
	v_bfe_u32 v6, v2, 20, 1
	s_mov_b32 s9, 0x407ffff
	v_add3_u32 v6, v2, v6, s9
	v_lshrrev_b32_e32 v6, 20, v6
; %bb.79:
	s_andn2_saveexec_b64 s[4:5], s[4:5]
; %bb.80:
	s_mov_b32 s9, 0x46800000
	v_add_f32_e64 v6, |v2|, s9
; %bb.81:
	s_or_b64 exec, exec, s[4:5]
.LBB0_82:
	s_or_b64 exec, exec, s[2:3]
	v_mul_f32_e32 v3, v14, v3
	v_min_f32_e32 v3, 0x43e00000, v3
	v_max_f32_e32 v3, 0xc3e00000, v3
	v_and_b32_e32 v14, 0x7fffffff, v3
	v_cmp_gt_u32_e32 vcc, s8, v14
	s_and_saveexec_b64 s[2:3], vcc
	s_cbranch_execz .LBB0_88
; %bb.83:
	s_mov_b32 s4, 0x3c7fffff
	v_cmp_lt_u32_e32 vcc, s4, v14
                                        ; implicit-def: $vgpr7
	s_and_saveexec_b64 s[4:5], vcc
	s_xor_b64 s[4:5], exec, s[4:5]
; %bb.84:
	v_bfe_u32 v7, v3, 20, 1
	s_mov_b32 s8, 0x407ffff
	v_add3_u32 v7, v3, v7, s8
	v_lshrrev_b32_e32 v7, 20, v7
; %bb.85:
	s_andn2_saveexec_b64 s[4:5], s[4:5]
; %bb.86:
	s_mov_b32 s8, 0x46800000
	v_add_f32_e64 v7, |v3|, s8
; %bb.87:
	s_or_b64 exec, exec, s[4:5]
.LBB0_88:
	s_or_b64 exec, exec, s[2:3]
	s_movk_i32 s2, 0x80
	v_and_b32_sdwa v2, v2, s2 dst_sel:DWORD dst_unused:UNUSED_PAD src0_sel:BYTE_3 src1_sel:DWORD
	v_and_b32_sdwa v1, v1, s2 dst_sel:DWORD dst_unused:UNUSED_PAD src0_sel:BYTE_3 src1_sel:DWORD
	;; [unrolled: 1-line block ×3, first 2 shown]
	s_movk_i32 s2, 0xff
	v_and_or_b32 v2, v6, s2, v2
	v_lshlrev_b32_e32 v7, 24, v7
	v_and_b32_e32 v3, 0x80000000, v3
	v_lshlrev_b32_e32 v2, 16, v2
	v_and_or_b32 v1, v4, s2, v1
	v_or3_b32 v2, v3, v7, v2
	v_lshlrev_b32_e32 v1, 8, v1
	v_and_or_b32 v0, v5, s2, v0
	v_or3_b32 v2, v2, v1, v0
	v_lshl_add_u64 v[0:1], v[8:9], 2, v[10:11]
	global_store_dword v[0:1], v2, off
.LBB0_89:
	s_or_b64 exec, exec, s[0:1]
	s_cmp_lg_u64 s[6:7], 0
	s_cselect_b64 s[0:1], -1, 0
	v_cmp_eq_u32_e32 vcc, 0, v8
	s_and_b64 s[0:1], s[0:1], vcc
	s_and_saveexec_b64 s[2:3], s[0:1]
	s_cbranch_execz .LBB0_91
; %bb.90:
	v_lshl_add_u64 v[0:1], v[12:13], 2, s[6:7]
	global_store_dword v[0:1], v15, off
.LBB0_91:
	s_endpgm
	.section	.rodata,"a",@progbits
	.p2align	6, 0x0
	.amdhsa_kernel _ZN4vllm24merge_attn_states_kernelIfN3c1013Float8_e4m3fnELj128ELb1EEEvPT0_PfPKT_PKfS8_SA_jjjjjjSA_
		.amdhsa_group_segment_fixed_size 0
		.amdhsa_private_segment_fixed_size 0
		.amdhsa_kernarg_size 80
		.amdhsa_user_sgpr_count 2
		.amdhsa_user_sgpr_dispatch_ptr 0
		.amdhsa_user_sgpr_queue_ptr 0
		.amdhsa_user_sgpr_kernarg_segment_ptr 1
		.amdhsa_user_sgpr_dispatch_id 0
		.amdhsa_user_sgpr_kernarg_preload_length 0
		.amdhsa_user_sgpr_kernarg_preload_offset 0
		.amdhsa_user_sgpr_private_segment_size 0
		.amdhsa_uses_dynamic_stack 0
		.amdhsa_enable_private_segment 0
		.amdhsa_system_sgpr_workgroup_id_x 1
		.amdhsa_system_sgpr_workgroup_id_y 0
		.amdhsa_system_sgpr_workgroup_id_z 0
		.amdhsa_system_sgpr_workgroup_info 0
		.amdhsa_system_vgpr_workitem_id 0
		.amdhsa_next_free_vgpr 30
		.amdhsa_next_free_sgpr 24
		.amdhsa_accum_offset 32
		.amdhsa_reserve_vcc 1
		.amdhsa_float_round_mode_32 0
		.amdhsa_float_round_mode_16_64 0
		.amdhsa_float_denorm_mode_32 3
		.amdhsa_float_denorm_mode_16_64 3
		.amdhsa_dx10_clamp 1
		.amdhsa_ieee_mode 1
		.amdhsa_fp16_overflow 0
		.amdhsa_tg_split 0
		.amdhsa_exception_fp_ieee_invalid_op 0
		.amdhsa_exception_fp_denorm_src 0
		.amdhsa_exception_fp_ieee_div_zero 0
		.amdhsa_exception_fp_ieee_overflow 0
		.amdhsa_exception_fp_ieee_underflow 0
		.amdhsa_exception_fp_ieee_inexact 0
		.amdhsa_exception_int_div_zero 0
	.end_amdhsa_kernel
	.section	.text._ZN4vllm24merge_attn_states_kernelIfN3c1013Float8_e4m3fnELj128ELb1EEEvPT0_PfPKT_PKfS8_SA_jjjjjjSA_,"axG",@progbits,_ZN4vllm24merge_attn_states_kernelIfN3c1013Float8_e4m3fnELj128ELb1EEEvPT0_PfPKT_PKfS8_SA_jjjjjjSA_,comdat
.Lfunc_end0:
	.size	_ZN4vllm24merge_attn_states_kernelIfN3c1013Float8_e4m3fnELj128ELb1EEEvPT0_PfPKT_PKfS8_SA_jjjjjjSA_, .Lfunc_end0-_ZN4vllm24merge_attn_states_kernelIfN3c1013Float8_e4m3fnELj128ELb1EEEvPT0_PfPKT_PKfS8_SA_jjjjjjSA_
                                        ; -- End function
	.section	.AMDGPU.csdata,"",@progbits
; Kernel info:
; codeLenInByte = 3288
; NumSgprs: 30
; NumVgprs: 30
; NumAgprs: 0
; TotalNumVgprs: 30
; ScratchSize: 0
; MemoryBound: 0
; FloatMode: 240
; IeeeMode: 1
; LDSByteSize: 0 bytes/workgroup (compile time only)
; SGPRBlocks: 3
; VGPRBlocks: 3
; NumSGPRsForWavesPerEU: 30
; NumVGPRsForWavesPerEU: 30
; AccumOffset: 32
; Occupancy: 8
; WaveLimiterHint : 0
; COMPUTE_PGM_RSRC2:SCRATCH_EN: 0
; COMPUTE_PGM_RSRC2:USER_SGPR: 2
; COMPUTE_PGM_RSRC2:TRAP_HANDLER: 0
; COMPUTE_PGM_RSRC2:TGID_X_EN: 1
; COMPUTE_PGM_RSRC2:TGID_Y_EN: 0
; COMPUTE_PGM_RSRC2:TGID_Z_EN: 0
; COMPUTE_PGM_RSRC2:TIDIG_COMP_CNT: 0
; COMPUTE_PGM_RSRC3_GFX90A:ACCUM_OFFSET: 7
; COMPUTE_PGM_RSRC3_GFX90A:TG_SPLIT: 0
	.section	.text._ZN4vllm24merge_attn_states_kernelIfN3c1015Float8_e4m3fnuzELj128ELb1EEEvPT0_PfPKT_PKfS8_SA_jjjjjjSA_,"axG",@progbits,_ZN4vllm24merge_attn_states_kernelIfN3c1015Float8_e4m3fnuzELj128ELb1EEEvPT0_PfPKT_PKfS8_SA_jjjjjjSA_,comdat
	.protected	_ZN4vllm24merge_attn_states_kernelIfN3c1015Float8_e4m3fnuzELj128ELb1EEEvPT0_PfPKT_PKfS8_SA_jjjjjjSA_ ; -- Begin function _ZN4vllm24merge_attn_states_kernelIfN3c1015Float8_e4m3fnuzELj128ELb1EEEvPT0_PfPKT_PKfS8_SA_jjjjjjSA_
	.globl	_ZN4vllm24merge_attn_states_kernelIfN3c1015Float8_e4m3fnuzELj128ELb1EEEvPT0_PfPKT_PKfS8_SA_jjjjjjSA_
	.p2align	8
	.type	_ZN4vllm24merge_attn_states_kernelIfN3c1015Float8_e4m3fnuzELj128ELb1EEEvPT0_PfPKT_PKfS8_SA_jjjjjjSA_,@function
_ZN4vllm24merge_attn_states_kernelIfN3c1015Float8_e4m3fnuzELj128ELb1EEEvPT0_PfPKT_PKfS8_SA_jjjjjjSA_: ; @_ZN4vllm24merge_attn_states_kernelIfN3c1015Float8_e4m3fnuzELj128ELb1EEEvPT0_PfPKT_PKfS8_SA_jjjjjjSA_
; %bb.0:
	s_load_dwordx4 s[12:15], s[0:1], 0x30
	v_lshl_add_u32 v0, s2, 7, v0
	s_waitcnt lgkmcnt(0)
	s_lshr_b32 s2, s14, 2
	s_mul_i32 s3, s13, s12
	s_mul_i32 s3, s3, s2
	v_cmp_gt_u32_e32 vcc, s3, v0
	s_and_saveexec_b64 s[4:5], vcc
	s_cbranch_execz .LBB1_19
; %bb.1:
	v_cvt_f32_u32_e32 v1, s2
	s_load_dwordx8 s[4:11], s[0:1], 0x0
	s_load_dwordx4 s[20:23], s[0:1], 0x40
	s_load_dwordx4 s[16:19], s[0:1], 0x20
	s_sub_i32 s0, 0, s2
	v_rcp_iflag_f32_e32 v1, v1
	v_cvt_f32_u32_e32 v4, s13
	v_mov_b32_e32 v9, 0
	s_waitcnt lgkmcnt(0)
	v_mov_b32_e32 v2, s16
	v_mul_f32_e32 v1, 0x4f7ffffe, v1
	v_cvt_u32_f32_e32 v1, v1
	v_rcp_iflag_f32_e32 v4, v4
	v_mov_b32_e32 v3, s17
	v_mov_b32_e32 v11, v9
	v_mul_lo_u32 v5, s0, v1
	v_mul_hi_u32 v5, v1, v5
	v_add_u32_e32 v1, v1, v5
	v_mul_hi_u32 v1, v0, v1
	v_mul_lo_u32 v5, v1, s2
	v_sub_u32_e32 v5, v0, v5
	v_add_u32_e32 v6, 1, v1
	v_cmp_le_u32_e32 vcc, s2, v5
	s_sub_i32 s0, 0, s13
	s_nop 0
	v_cndmask_b32_e32 v1, v1, v6, vcc
	v_subrev_u32_e32 v6, s2, v5
	v_cndmask_b32_e32 v5, v5, v6, vcc
	v_add_u32_e32 v6, 1, v1
	v_cmp_le_u32_e32 vcc, s2, v5
	s_nop 1
	v_cndmask_b32_e32 v6, v1, v6, vcc
	v_mul_f32_e32 v1, 0x4f7ffffe, v4
	v_cvt_u32_f32_e32 v1, v1
	v_mul_lo_u32 v4, v6, s2
	v_sub_u32_e32 v0, v0, v4
	s_load_dword s2, s[22:23], 0x0
	v_mul_lo_u32 v4, s0, v1
	v_mul_hi_u32 v4, v1, v4
	v_add_u32_e32 v1, v1, v4
	v_mul_hi_u32 v1, v6, v1
	v_mul_lo_u32 v4, v1, s13
	v_sub_u32_e32 v4, v6, v4
	v_add_u32_e32 v5, 1, v1
	v_cmp_le_u32_e32 vcc, s13, v4
	s_waitcnt lgkmcnt(0)
	v_div_scale_f32 v12, s[0:1], s2, s2, 1.0
	v_cndmask_b32_e32 v1, v1, v5, vcc
	v_subrev_u32_e32 v5, s13, v4
	v_cndmask_b32_e32 v4, v4, v5, vcc
	v_rcp_f32_e32 v13, v12
	v_add_u32_e32 v5, 1, v1
	v_cmp_le_u32_e32 vcc, s13, v4
	v_mul_lo_u32 v8, v6, s15
	v_mul_lo_u32 v10, v6, s20
	v_cndmask_b32_e32 v4, v1, v5, vcc
	v_mul_lo_u32 v1, v4, s13
	v_sub_u32_e32 v5, v6, v1
	v_lshl_add_u64 v[6:7], v[8:9], 2, v[2:3]
	v_lshl_add_u64 v[2:3], s[4:5], 0, v[10:11]
	v_fma_f32 v10, -v12, v13, 1.0
	v_fmac_f32_e32 v13, v10, v13
	v_div_scale_f32 v10, vcc, 1.0, s2, 1.0
	v_mul_f32_e32 v11, v10, v13
	v_fma_f32 v14, -v12, v11, v10
	v_fmac_f32_e32 v11, v14, v13
	v_fma_f32 v10, -v12, v11, v10
	v_div_fmas_f32 v10, v10, v13, v11
	v_lshlrev_b32_e32 v1, 2, v0
	v_div_fixup_f32 v10, v10, s2, 1.0
	v_cmp_le_u32_e32 vcc, s21, v4
	s_and_saveexec_b64 s[0:1], vcc
	s_xor_b64 s[0:1], exec, s[0:1]
	s_cbranch_execz .LBB1_7
; %bb.2:
	v_cmp_gt_u32_e32 vcc, s14, v1
	s_and_saveexec_b64 s[2:3], vcc
	s_cbranch_execz .LBB1_4
; %bb.3:
	v_mov_b32_e32 v1, 0
	v_lshl_add_u64 v[6:7], v[0:1], 4, v[6:7]
	global_load_dwordx4 v[6:9], v[6:7], off
	s_mov_b32 s4, 0x7f800000
	s_mov_b32 s5, 0x43700000
	v_mov_b32_e32 v11, 0xc3700000
	v_mov_b32_e32 v13, v1
	;; [unrolled: 1-line block ×5, first 2 shown]
	s_mov_b32 s13, 0x4020c0c
	v_lshl_add_u64 v[2:3], v[0:1], 2, v[2:3]
	s_waitcnt vmcnt(0)
	v_mul_f32_e32 v6, v10, v6
	v_mul_f32_e32 v7, v10, v7
	v_min_f32_e32 v6, 0x43600000, v6
	v_mul_f32_e32 v8, v10, v8
	v_min_f32_e32 v7, 0x43600000, v7
	v_max_f32_e32 v6, 0xc3600000, v6
	v_mul_f32_e32 v9, v10, v9
	v_min_f32_e32 v8, 0x43600000, v8
	v_max_f32_e32 v7, 0xc3600000, v7
	v_med3_f32 v10, v6, s5, v11
	v_cmp_nlg_f32_e64 vcc, |v6|, s4
	v_min_f32_e32 v9, 0x43600000, v9
	v_max_f32_e32 v8, 0xc3600000, v8
	v_med3_f32 v16, v7, s5, v11
	v_cndmask_b32_e32 v6, v10, v6, vcc
	v_cmp_nlg_f32_e64 vcc, |v7|, s4
	v_max_f32_e32 v9, 0xc3600000, v9
	v_med3_f32 v17, v8, s5, v11
	v_cndmask_b32_e32 v7, v16, v7, vcc
	v_cmp_nlg_f32_e64 vcc, |v8|, s4
	v_med3_f32 v11, v9, s5, v11
	v_cvt_pk_fp8_f32 v13, v7, v7
	v_cndmask_b32_e32 v8, v17, v8, vcc
	v_cmp_nlg_f32_e64 vcc, |v9|, s4
	v_cvt_pk_fp8_f32 v14, v8, v8
	v_cvt_pk_fp8_f32 v12, v6, v6
	v_cndmask_b32_e32 v9, v11, v9, vcc
	v_cvt_pk_fp8_f32 v15, v9, v9
	v_lshlrev_b32_e32 v6, 16, v14
	v_lshlrev_b32_e32 v7, 8, v13
	v_and_b32_e32 v8, 0xff, v12
	v_perm_b32 v6, v15, v6, s13
	v_and_b32_e32 v7, 0xff00, v7
	v_or3_b32 v6, v6, v7, v8
	global_store_dword v[2:3], v6, off
.LBB1_4:
	s_or_b64 exec, exec, s[2:3]
	s_cmp_lg_u64 s[6:7], 0
	s_cselect_b64 s[2:3], -1, 0
	v_cmp_eq_u32_e32 vcc, 0, v0
	s_and_b64 s[4:5], s[2:3], vcc
	s_and_saveexec_b64 s[2:3], s[4:5]
	s_cbranch_execz .LBB1_6
; %bb.5:
	v_mad_u64_u32 v[0:1], s[4:5], v5, s12, v[4:5]
	v_mov_b32_e32 v1, 0
	v_lshlrev_b64 v[0:1], 2, v[0:1]
	v_lshl_add_u64 v[2:3], s[18:19], 0, v[0:1]
	global_load_dword v2, v[2:3], off
	v_lshl_add_u64 v[0:1], s[6:7], 0, v[0:1]
	s_waitcnt vmcnt(0)
	global_store_dword v[0:1], v2, off
.LBB1_6:
	s_or_b64 exec, exec, s[2:3]
                                        ; implicit-def: $vgpr8_vgpr9
                                        ; implicit-def: $vgpr4
                                        ; implicit-def: $vgpr5
                                        ; implicit-def: $vgpr0
                                        ; implicit-def: $vgpr1
                                        ; implicit-def: $vgpr10
                                        ; implicit-def: $vgpr2_vgpr3
                                        ; implicit-def: $vgpr6_vgpr7
.LBB1_7:
	s_andn2_saveexec_b64 s[0:1], s[0:1]
	s_cbranch_execz .LBB1_19
; %bb.8:
	v_mad_u64_u32 v[4:5], s[0:1], v5, s12, v[4:5]
	v_mov_b32_e32 v5, 0
	v_lshlrev_b64 v[12:13], 2, v[4:5]
	v_lshl_add_u64 v[14:15], s[10:11], 0, v[12:13]
	global_load_dword v11, v[14:15], off
	v_lshl_add_u64 v[12:13], s[18:19], 0, v[12:13]
	global_load_dword v14, v[12:13], off
	v_mov_b32_e32 v12, s8
	s_mov_b32 s8, 0x7f800000
	v_mov_b32_e32 v13, s9
	v_mov_b32_e32 v15, 0xff800000
	v_lshl_add_u64 v[8:9], v[8:9], 2, v[12:13]
	s_waitcnt vmcnt(1)
	v_cmp_neq_f32_e64 vcc, |v11|, s8
	s_nop 1
	v_cndmask_b32_e32 v13, v15, v11, vcc
	s_waitcnt vmcnt(0)
	v_cmp_neq_f32_e64 vcc, |v14|, s8
	v_max_f32_e32 v11, v13, v13
	s_nop 0
	v_cndmask_b32_e32 v12, v15, v14, vcc
	v_max_f32_e32 v14, v12, v12
	v_max_f32_e32 v11, v11, v14
	v_cmp_neq_f32_e64 s[0:1], |v11|, s8
	s_and_saveexec_b64 s[2:3], s[0:1]
	s_xor_b64 s[2:3], exec, s[2:3]
	s_cbranch_execz .LBB1_14
; %bb.9:
	v_sub_f32_e32 v13, v13, v11
	s_mov_b32 s0, 0x3fb8aa3b
	v_mul_f32_e32 v14, 0x3fb8aa3b, v13
	v_fma_f32 v15, v13, s0, -v14
	v_rndne_f32_e32 v16, v14
	v_fmac_f32_e32 v15, 0x32a5705f, v13
	v_sub_f32_e32 v14, v14, v16
	v_add_f32_e32 v14, v14, v15
	v_exp_f32_e32 v14, v14
	v_cvt_i32_f32_e32 v15, v16
	v_sub_f32_e32 v12, v12, v11
	s_mov_b32 s1, 0xc2ce8ed0
	v_cmp_ngt_f32_e32 vcc, s1, v13
	v_ldexp_f32 v14, v14, v15
	v_mul_f32_e32 v15, 0x3fb8aa3b, v12
	v_fma_f32 v16, v12, s0, -v15
	v_rndne_f32_e32 v17, v15
	v_fmac_f32_e32 v16, 0x32a5705f, v12
	v_sub_f32_e32 v15, v15, v17
	v_add_f32_e32 v15, v15, v16
	v_exp_f32_e32 v15, v15
	v_cvt_i32_f32_e32 v16, v17
	s_mov_b32 s4, 0x42b17218
	v_cndmask_b32_e32 v14, 0, v14, vcc
	v_mov_b32_e32 v17, 0x7f800000
	v_cmp_nlt_f32_e32 vcc, s4, v13
	s_nop 1
	v_cndmask_b32_e32 v13, v17, v14, vcc
	v_ldexp_f32 v14, v15, v16
	v_cmp_ngt_f32_e32 vcc, s1, v12
	s_nop 1
	v_cndmask_b32_e32 v14, 0, v14, vcc
	v_cmp_nlt_f32_e32 vcc, s4, v12
	s_nop 1
	v_cndmask_b32_e32 v14, v17, v14, vcc
	v_add_f32_e32 v12, v13, v14
	v_cmp_gt_u32_e32 vcc, s14, v1
	s_and_saveexec_b64 s[4:5], vcc
	s_cbranch_execz .LBB1_11
; %bb.10:
	v_mov_b32_e32 v1, 0
	v_lshlrev_b64 v[20:21], 4, v[0:1]
	v_lshl_add_u64 v[6:7], v[6:7], 0, v[20:21]
	global_load_dwordx4 v[16:19], v[6:7], off
	v_lshl_add_u64 v[6:7], v[8:9], 0, v[20:21]
	global_load_dwordx4 v[6:9], v[6:7], off
	v_div_scale_f32 v15, s[0:1], v12, v12, v14
	v_div_scale_f32 v21, s[0:1], v12, v12, v13
	v_rcp_f32_e32 v24, v15
	v_rcp_f32_e32 v25, v21
	v_div_scale_f32 v20, vcc, v14, v12, v14
	v_fma_f32 v30, -v15, v24, 1.0
	v_fma_f32 v31, -v21, v25, 1.0
	v_fmac_f32_e32 v24, v30, v24
	v_div_scale_f32 v22, s[0:1], v13, v12, v13
	v_fmac_f32_e32 v25, v31, v25
	v_mul_f32_e32 v30, v20, v24
	v_mul_f32_e32 v31, v22, v25
	v_fma_f32 v32, -v15, v30, v20
	v_fma_f32 v33, -v21, v31, v22
	v_fmac_f32_e32 v30, v32, v24
	v_fmac_f32_e32 v31, v33, v25
	v_fma_f32 v15, -v15, v30, v20
	v_fma_f32 v20, -v21, v31, v22
	v_div_fmas_f32 v15, v15, v24, v30
	s_mov_b64 vcc, s[0:1]
	v_div_fixup_f32 v14, v15, v12, v14
	v_div_fmas_f32 v15, v20, v25, v31
	v_div_fixup_f32 v13, v15, v12, v13
	s_mov_b32 s9, 0x43700000
	v_mov_b32_e32 v23, 0xc3700000
	v_mov_b32_e32 v27, v1
	;; [unrolled: 1-line block ×5, first 2 shown]
	s_mov_b32 s10, 0x4020c0c
	v_lshl_add_u64 v[2:3], v[0:1], 2, v[2:3]
	s_waitcnt vmcnt(1)
	v_mul_f32_e32 v15, v14, v16
	v_mul_f32_e32 v16, v14, v17
	s_waitcnt vmcnt(0)
	v_fmac_f32_e32 v15, v13, v6
	v_mul_f32_e32 v17, v14, v18
	v_fmac_f32_e32 v16, v13, v7
	v_mul_f32_e32 v6, v10, v15
	v_mul_f32_e32 v14, v14, v19
	v_fmac_f32_e32 v17, v13, v8
	v_mul_f32_e32 v7, v10, v16
	v_min_f32_e32 v6, 0x43600000, v6
	v_fmac_f32_e32 v14, v13, v9
	v_mul_f32_e32 v8, v10, v17
	v_min_f32_e32 v7, 0x43600000, v7
	v_max_f32_e32 v6, 0xc3600000, v6
	v_mul_f32_e32 v9, v10, v14
	v_min_f32_e32 v8, 0x43600000, v8
	v_max_f32_e32 v7, 0xc3600000, v7
	v_med3_f32 v10, v6, s9, v23
	v_cmp_nlg_f32_e64 vcc, |v6|, s8
	v_min_f32_e32 v9, 0x43600000, v9
	v_max_f32_e32 v8, 0xc3600000, v8
	v_med3_f32 v13, v7, s9, v23
	v_cndmask_b32_e32 v6, v10, v6, vcc
	v_cmp_nlg_f32_e64 vcc, |v7|, s8
	v_max_f32_e32 v9, 0xc3600000, v9
	v_med3_f32 v14, v8, s9, v23
	v_cndmask_b32_e32 v7, v13, v7, vcc
	v_cmp_nlg_f32_e64 vcc, |v8|, s8
	v_med3_f32 v15, v9, s9, v23
	v_cvt_pk_fp8_f32 v27, v7, v7
	v_cndmask_b32_e32 v8, v14, v8, vcc
	v_cmp_nlg_f32_e64 vcc, |v9|, s8
	v_cvt_pk_fp8_f32 v28, v8, v8
	v_cvt_pk_fp8_f32 v26, v6, v6
	v_cndmask_b32_e32 v9, v15, v9, vcc
	v_cvt_pk_fp8_f32 v29, v9, v9
	v_lshlrev_b32_e32 v6, 16, v28
	v_lshlrev_b32_e32 v7, 8, v27
	v_and_b32_e32 v8, 0xff, v26
	v_perm_b32 v6, v29, v6, s10
	v_and_b32_e32 v7, 0xff00, v7
	v_or3_b32 v6, v6, v7, v8
	global_store_dword v[2:3], v6, off
.LBB1_11:
	s_or_b64 exec, exec, s[4:5]
	s_cmp_lg_u64 s[6:7], 0
	s_cselect_b64 s[0:1], -1, 0
	v_cmp_eq_u32_e32 vcc, 0, v0
	s_and_b64 s[0:1], s[0:1], vcc
	s_and_saveexec_b64 s[4:5], s[0:1]
	s_cbranch_execz .LBB1_13
; %bb.12:
	s_mov_b32 s0, 0x800000
	v_mov_b32_e32 v0, 0x4f800000
	v_cmp_gt_f32_e32 vcc, s0, v12
	s_mov_b32 s0, 0x3f317217
	s_nop 0
	v_cndmask_b32_e32 v0, 1.0, v0, vcc
	v_mul_f32_e32 v0, v12, v0
	v_log_f32_e32 v2, v0
	v_lshl_add_u64 v[0:1], v[4:5], 2, s[6:7]
	v_mul_f32_e32 v3, 0x3f317217, v2
	v_fma_f32 v4, v2, s0, -v3
	v_fmamk_f32 v4, v2, 0x3377d1cf, v4
	s_mov_b32 s0, 0x7f800000
	v_add_f32_e32 v3, v3, v4
	v_cmp_lt_f32_e64 s[0:1], |v2|, s0
	s_nop 1
	v_cndmask_b32_e64 v2, v2, v3, s[0:1]
	v_mov_b32_e32 v3, 0x41b17218
	v_cndmask_b32_e32 v3, 0, v3, vcc
	v_sub_f32_e32 v2, v2, v3
	v_add_f32_e32 v2, v11, v2
	global_store_dword v[0:1], v2, off
.LBB1_13:
	s_or_b64 exec, exec, s[4:5]
                                        ; implicit-def: $vgpr0
                                        ; implicit-def: $vgpr4_vgpr5
                                        ; implicit-def: $vgpr11
                                        ; implicit-def: $vgpr1
                                        ; implicit-def: $vgpr8_vgpr9
                                        ; implicit-def: $vgpr10
                                        ; implicit-def: $vgpr2_vgpr3
.LBB1_14:
	s_andn2_saveexec_b64 s[0:1], s[2:3]
	s_cbranch_execz .LBB1_19
; %bb.15:
	v_cmp_gt_u32_e32 vcc, s14, v1
	s_and_saveexec_b64 s[0:1], vcc
	s_cbranch_execz .LBB1_17
; %bb.16:
	v_mov_b32_e32 v1, 0
	v_lshl_add_u64 v[6:7], v[0:1], 4, v[8:9]
	global_load_dwordx4 v[6:9], v[6:7], off
	s_mov_b32 s2, 0x7f800000
	s_mov_b32 s3, 0x43700000
	v_mov_b32_e32 v12, 0xc3700000
	v_mov_b32_e32 v14, v1
	;; [unrolled: 1-line block ×5, first 2 shown]
	s_mov_b32 s4, 0x4020c0c
	v_lshl_add_u64 v[2:3], v[0:1], 2, v[2:3]
	s_waitcnt vmcnt(0)
	v_mul_f32_e32 v6, v10, v6
	v_mul_f32_e32 v7, v10, v7
	v_min_f32_e32 v6, 0x43600000, v6
	v_mul_f32_e32 v8, v10, v8
	v_min_f32_e32 v7, 0x43600000, v7
	v_max_f32_e32 v6, 0xc3600000, v6
	v_mul_f32_e32 v9, v10, v9
	v_min_f32_e32 v8, 0x43600000, v8
	v_max_f32_e32 v7, 0xc3600000, v7
	v_med3_f32 v10, v6, s3, v12
	v_cmp_nlg_f32_e64 vcc, |v6|, s2
	v_min_f32_e32 v9, 0x43600000, v9
	v_max_f32_e32 v8, 0xc3600000, v8
	v_med3_f32 v17, v7, s3, v12
	v_cndmask_b32_e32 v6, v10, v6, vcc
	v_cmp_nlg_f32_e64 vcc, |v7|, s2
	v_max_f32_e32 v9, 0xc3600000, v9
	v_med3_f32 v18, v8, s3, v12
	v_cndmask_b32_e32 v7, v17, v7, vcc
	v_cmp_nlg_f32_e64 vcc, |v8|, s2
	v_med3_f32 v12, v9, s3, v12
	v_cvt_pk_fp8_f32 v14, v7, v7
	v_cndmask_b32_e32 v8, v18, v8, vcc
	v_cmp_nlg_f32_e64 vcc, |v9|, s2
	v_cvt_pk_fp8_f32 v15, v8, v8
	v_cvt_pk_fp8_f32 v13, v6, v6
	v_cndmask_b32_e32 v9, v12, v9, vcc
	v_cvt_pk_fp8_f32 v16, v9, v9
	v_lshlrev_b32_e32 v6, 16, v15
	v_lshlrev_b32_e32 v7, 8, v14
	v_and_b32_e32 v8, 0xff, v13
	v_perm_b32 v6, v16, v6, s4
	v_and_b32_e32 v7, 0xff00, v7
	v_or3_b32 v6, v6, v7, v8
	global_store_dword v[2:3], v6, off
.LBB1_17:
	s_or_b64 exec, exec, s[0:1]
	s_cmp_lg_u64 s[6:7], 0
	s_cselect_b64 s[0:1], -1, 0
	v_cmp_eq_u32_e32 vcc, 0, v0
	s_and_b64 s[0:1], s[0:1], vcc
	s_and_saveexec_b64 s[2:3], s[0:1]
	s_cbranch_execz .LBB1_19
; %bb.18:
	v_lshl_add_u64 v[0:1], v[4:5], 2, s[6:7]
	global_store_dword v[0:1], v11, off
.LBB1_19:
	s_endpgm
	.section	.rodata,"a",@progbits
	.p2align	6, 0x0
	.amdhsa_kernel _ZN4vllm24merge_attn_states_kernelIfN3c1015Float8_e4m3fnuzELj128ELb1EEEvPT0_PfPKT_PKfS8_SA_jjjjjjSA_
		.amdhsa_group_segment_fixed_size 0
		.amdhsa_private_segment_fixed_size 0
		.amdhsa_kernarg_size 80
		.amdhsa_user_sgpr_count 2
		.amdhsa_user_sgpr_dispatch_ptr 0
		.amdhsa_user_sgpr_queue_ptr 0
		.amdhsa_user_sgpr_kernarg_segment_ptr 1
		.amdhsa_user_sgpr_dispatch_id 0
		.amdhsa_user_sgpr_kernarg_preload_length 0
		.amdhsa_user_sgpr_kernarg_preload_offset 0
		.amdhsa_user_sgpr_private_segment_size 0
		.amdhsa_uses_dynamic_stack 0
		.amdhsa_enable_private_segment 0
		.amdhsa_system_sgpr_workgroup_id_x 1
		.amdhsa_system_sgpr_workgroup_id_y 0
		.amdhsa_system_sgpr_workgroup_id_z 0
		.amdhsa_system_sgpr_workgroup_info 0
		.amdhsa_system_vgpr_workitem_id 0
		.amdhsa_next_free_vgpr 34
		.amdhsa_next_free_sgpr 24
		.amdhsa_accum_offset 36
		.amdhsa_reserve_vcc 1
		.amdhsa_float_round_mode_32 0
		.amdhsa_float_round_mode_16_64 0
		.amdhsa_float_denorm_mode_32 3
		.amdhsa_float_denorm_mode_16_64 3
		.amdhsa_dx10_clamp 1
		.amdhsa_ieee_mode 1
		.amdhsa_fp16_overflow 0
		.amdhsa_tg_split 0
		.amdhsa_exception_fp_ieee_invalid_op 0
		.amdhsa_exception_fp_denorm_src 0
		.amdhsa_exception_fp_ieee_div_zero 0
		.amdhsa_exception_fp_ieee_overflow 0
		.amdhsa_exception_fp_ieee_underflow 0
		.amdhsa_exception_fp_ieee_inexact 0
		.amdhsa_exception_int_div_zero 0
	.end_amdhsa_kernel
	.section	.text._ZN4vllm24merge_attn_states_kernelIfN3c1015Float8_e4m3fnuzELj128ELb1EEEvPT0_PfPKT_PKfS8_SA_jjjjjjSA_,"axG",@progbits,_ZN4vllm24merge_attn_states_kernelIfN3c1015Float8_e4m3fnuzELj128ELb1EEEvPT0_PfPKT_PKfS8_SA_jjjjjjSA_,comdat
.Lfunc_end1:
	.size	_ZN4vllm24merge_attn_states_kernelIfN3c1015Float8_e4m3fnuzELj128ELb1EEEvPT0_PfPKT_PKfS8_SA_jjjjjjSA_, .Lfunc_end1-_ZN4vllm24merge_attn_states_kernelIfN3c1015Float8_e4m3fnuzELj128ELb1EEEvPT0_PfPKT_PKfS8_SA_jjjjjjSA_
                                        ; -- End function
	.section	.AMDGPU.csdata,"",@progbits
; Kernel info:
; codeLenInByte = 2312
; NumSgprs: 30
; NumVgprs: 34
; NumAgprs: 0
; TotalNumVgprs: 34
; ScratchSize: 0
; MemoryBound: 0
; FloatMode: 240
; IeeeMode: 1
; LDSByteSize: 0 bytes/workgroup (compile time only)
; SGPRBlocks: 3
; VGPRBlocks: 4
; NumSGPRsForWavesPerEU: 30
; NumVGPRsForWavesPerEU: 34
; AccumOffset: 36
; Occupancy: 8
; WaveLimiterHint : 0
; COMPUTE_PGM_RSRC2:SCRATCH_EN: 0
; COMPUTE_PGM_RSRC2:USER_SGPR: 2
; COMPUTE_PGM_RSRC2:TRAP_HANDLER: 0
; COMPUTE_PGM_RSRC2:TGID_X_EN: 1
; COMPUTE_PGM_RSRC2:TGID_Y_EN: 0
; COMPUTE_PGM_RSRC2:TGID_Z_EN: 0
; COMPUTE_PGM_RSRC2:TIDIG_COMP_CNT: 0
; COMPUTE_PGM_RSRC3_GFX90A:ACCUM_OFFSET: 8
; COMPUTE_PGM_RSRC3_GFX90A:TG_SPLIT: 0
	.section	.text._ZN4vllm24merge_attn_states_kernelIffLj128ELb0EEEvPT0_PfPKT_PKfS6_S8_jjjjjjS8_,"axG",@progbits,_ZN4vllm24merge_attn_states_kernelIffLj128ELb0EEEvPT0_PfPKT_PKfS6_S8_jjjjjjS8_,comdat
	.protected	_ZN4vllm24merge_attn_states_kernelIffLj128ELb0EEEvPT0_PfPKT_PKfS6_S8_jjjjjjS8_ ; -- Begin function _ZN4vllm24merge_attn_states_kernelIffLj128ELb0EEEvPT0_PfPKT_PKfS6_S8_jjjjjjS8_
	.globl	_ZN4vllm24merge_attn_states_kernelIffLj128ELb0EEEvPT0_PfPKT_PKfS6_S8_jjjjjjS8_
	.p2align	8
	.type	_ZN4vllm24merge_attn_states_kernelIffLj128ELb0EEEvPT0_PfPKT_PKfS6_S8_jjjjjjS8_,@function
_ZN4vllm24merge_attn_states_kernelIffLj128ELb0EEEvPT0_PfPKT_PKfS6_S8_jjjjjjS8_: ; @_ZN4vllm24merge_attn_states_kernelIffLj128ELb0EEEvPT0_PfPKT_PKfS6_S8_jjjjjjS8_
; %bb.0:
	s_load_dwordx4 s[12:15], s[0:1], 0x30
	v_lshl_add_u32 v0, s2, 7, v0
	s_waitcnt lgkmcnt(0)
	s_lshr_b32 s2, s14, 2
	s_mul_i32 s3, s13, s12
	s_mul_i32 s3, s3, s2
	v_cmp_gt_u32_e32 vcc, s3, v0
	s_and_saveexec_b64 s[4:5], vcc
	s_cbranch_execz .LBB2_19
; %bb.1:
	v_cvt_f32_u32_e32 v1, s2
	s_load_dwordx8 s[4:11], s[0:1], 0x0
	s_load_dwordx2 s[20:21], s[0:1], 0x40
	s_load_dwordx4 s[16:19], s[0:1], 0x20
	s_sub_i32 s0, 0, s2
	v_rcp_iflag_f32_e32 v1, v1
	v_cvt_f32_u32_e32 v8, s13
	s_waitcnt lgkmcnt(0)
	v_mov_b32_e32 v4, s4
	v_mov_b32_e32 v5, s5
	v_mul_f32_e32 v1, 0x4f7ffffe, v1
	v_cvt_u32_f32_e32 v1, v1
	v_mov_b32_e32 v6, s16
	v_mov_b32_e32 v7, s17
	v_mul_lo_u32 v2, s0, v1
	v_mul_hi_u32 v2, v1, v2
	v_add_u32_e32 v1, v1, v2
	v_mul_hi_u32 v1, v0, v1
	v_mul_lo_u32 v2, v1, s2
	v_sub_u32_e32 v2, v0, v2
	v_add_u32_e32 v3, 1, v1
	v_cmp_le_u32_e32 vcc, s2, v2
	s_sub_i32 s0, 0, s13
	s_nop 0
	v_cndmask_b32_e32 v1, v1, v3, vcc
	v_subrev_u32_e32 v3, s2, v2
	v_cndmask_b32_e32 v2, v2, v3, vcc
	v_rcp_iflag_f32_e32 v3, v8
	v_add_u32_e32 v8, 1, v1
	v_cmp_le_u32_e32 vcc, s2, v2
	s_nop 1
	v_cndmask_b32_e32 v9, v1, v8, vcc
	v_mul_f32_e32 v1, 0x4f7ffffe, v3
	v_cvt_u32_f32_e32 v1, v1
	v_mul_lo_u32 v2, v9, s2
	v_sub_u32_e32 v0, v0, v2
	v_mul_lo_u32 v8, v9, s15
	v_mul_lo_u32 v2, s0, v1
	v_mul_hi_u32 v2, v1, v2
	v_add_u32_e32 v1, v1, v2
	v_mul_hi_u32 v1, v9, v1
	v_mul_lo_u32 v2, v1, s13
	v_sub_u32_e32 v2, v9, v2
	v_add_u32_e32 v3, 1, v1
	v_cmp_le_u32_e32 vcc, s13, v2
	v_mul_lo_u32 v10, v9, s20
	s_nop 0
	v_cndmask_b32_e32 v1, v1, v3, vcc
	v_subrev_u32_e32 v3, s13, v2
	v_cndmask_b32_e32 v2, v2, v3, vcc
	v_add_u32_e32 v3, 1, v1
	v_cmp_le_u32_e32 vcc, s13, v2
	s_nop 1
	v_cndmask_b32_e32 v2, v1, v3, vcc
	v_mul_lo_u32 v1, v2, s13
	v_sub_u32_e32 v3, v9, v1
	v_mov_b32_e32 v9, 0
	v_mov_b32_e32 v11, v9
	v_lshlrev_b32_e32 v1, 2, v0
	v_lshl_add_u64 v[6:7], v[8:9], 2, v[6:7]
	v_lshl_add_u64 v[4:5], v[10:11], 2, v[4:5]
	v_cmp_le_u32_e32 vcc, s21, v2
	s_and_saveexec_b64 s[0:1], vcc
	s_xor_b64 s[0:1], exec, s[0:1]
	s_cbranch_execz .LBB2_7
; %bb.2:
	v_cmp_gt_u32_e32 vcc, s14, v1
	s_and_saveexec_b64 s[2:3], vcc
	s_cbranch_execz .LBB2_4
; %bb.3:
	v_mov_b32_e32 v1, 0
	v_lshlrev_b64 v[10:11], 4, v[0:1]
	v_lshl_add_u64 v[6:7], v[6:7], 0, v[10:11]
	global_load_dwordx4 v[6:9], v[6:7], off
	v_lshl_add_u64 v[4:5], v[4:5], 0, v[10:11]
	s_waitcnt vmcnt(0)
	global_store_dwordx4 v[4:5], v[6:9], off
.LBB2_4:
	s_or_b64 exec, exec, s[2:3]
	s_cmp_lg_u64 s[6:7], 0
	s_cselect_b64 s[2:3], -1, 0
	v_cmp_eq_u32_e32 vcc, 0, v0
	s_and_b64 s[4:5], s[2:3], vcc
	s_and_saveexec_b64 s[2:3], s[4:5]
	s_cbranch_execz .LBB2_6
; %bb.5:
	v_mad_u64_u32 v[0:1], s[4:5], v3, s12, v[2:3]
	v_mov_b32_e32 v1, 0
	v_lshlrev_b64 v[0:1], 2, v[0:1]
	v_lshl_add_u64 v[2:3], s[18:19], 0, v[0:1]
	global_load_dword v2, v[2:3], off
	v_lshl_add_u64 v[0:1], s[6:7], 0, v[0:1]
	s_waitcnt vmcnt(0)
	global_store_dword v[0:1], v2, off
.LBB2_6:
	s_or_b64 exec, exec, s[2:3]
                                        ; implicit-def: $vgpr8_vgpr9
                                        ; implicit-def: $vgpr2
                                        ; implicit-def: $vgpr3
                                        ; implicit-def: $vgpr0
                                        ; implicit-def: $vgpr1
                                        ; implicit-def: $vgpr4_vgpr5
                                        ; implicit-def: $vgpr6_vgpr7
.LBB2_7:
	s_andn2_saveexec_b64 s[0:1], s[0:1]
	s_cbranch_execz .LBB2_19
; %bb.8:
	v_mad_u64_u32 v[2:3], s[0:1], v3, s12, v[2:3]
	v_mov_b32_e32 v3, 0
	v_lshlrev_b64 v[10:11], 2, v[2:3]
	v_lshl_add_u64 v[12:13], s[10:11], 0, v[10:11]
	global_load_dword v12, v[12:13], off
	v_lshl_add_u64 v[10:11], s[18:19], 0, v[10:11]
	global_load_dword v13, v[10:11], off
	s_mov_b32 s0, 0x7f800000
	v_mov_b32_e32 v14, 0xff800000
	v_mov_b32_e32 v10, s8
	;; [unrolled: 1-line block ×3, first 2 shown]
	v_lshl_add_u64 v[8:9], v[8:9], 2, v[10:11]
	s_waitcnt vmcnt(1)
	v_cmp_neq_f32_e64 vcc, |v12|, s0
	s_nop 1
	v_cndmask_b32_e32 v12, v14, v12, vcc
	s_waitcnt vmcnt(0)
	v_cmp_neq_f32_e64 vcc, |v13|, s0
	v_max_f32_e32 v10, v12, v12
	s_nop 0
	v_cndmask_b32_e32 v11, v14, v13, vcc
	v_max_f32_e32 v13, v11, v11
	v_max_f32_e32 v10, v10, v13
	v_cmp_neq_f32_e64 s[0:1], |v10|, s0
	s_and_saveexec_b64 s[2:3], s[0:1]
	s_xor_b64 s[2:3], exec, s[2:3]
	s_cbranch_execz .LBB2_14
; %bb.9:
	v_sub_f32_e32 v12, v12, v10
	s_mov_b32 s0, 0x3fb8aa3b
	v_mul_f32_e32 v13, 0x3fb8aa3b, v12
	v_fma_f32 v14, v12, s0, -v13
	v_rndne_f32_e32 v15, v13
	v_fmac_f32_e32 v14, 0x32a5705f, v12
	v_sub_f32_e32 v13, v13, v15
	v_add_f32_e32 v13, v13, v14
	v_exp_f32_e32 v13, v13
	v_cvt_i32_f32_e32 v14, v15
	v_sub_f32_e32 v11, v11, v10
	s_mov_b32 s1, 0xc2ce8ed0
	v_cmp_ngt_f32_e32 vcc, s1, v12
	v_ldexp_f32 v13, v13, v14
	v_mul_f32_e32 v14, 0x3fb8aa3b, v11
	v_fma_f32 v15, v11, s0, -v14
	v_rndne_f32_e32 v16, v14
	v_fmac_f32_e32 v15, 0x32a5705f, v11
	v_sub_f32_e32 v14, v14, v16
	v_add_f32_e32 v14, v14, v15
	v_exp_f32_e32 v14, v14
	v_cvt_i32_f32_e32 v15, v16
	s_mov_b32 s4, 0x42b17218
	v_cndmask_b32_e32 v13, 0, v13, vcc
	v_mov_b32_e32 v16, 0x7f800000
	v_cmp_nlt_f32_e32 vcc, s4, v12
	s_nop 1
	v_cndmask_b32_e32 v12, v16, v13, vcc
	v_ldexp_f32 v13, v14, v15
	v_cmp_ngt_f32_e32 vcc, s1, v11
	s_nop 1
	v_cndmask_b32_e32 v13, 0, v13, vcc
	v_cmp_nlt_f32_e32 vcc, s4, v11
	s_nop 1
	v_cndmask_b32_e32 v13, v16, v13, vcc
	v_add_f32_e32 v11, v12, v13
	v_cmp_gt_u32_e32 vcc, s14, v1
	s_and_saveexec_b64 s[4:5], vcc
	s_cbranch_execz .LBB2_11
; %bb.10:
	v_mov_b32_e32 v1, 0
	v_lshlrev_b64 v[18:19], 4, v[0:1]
	v_lshl_add_u64 v[6:7], v[6:7], 0, v[18:19]
	global_load_dwordx4 v[14:17], v[6:7], off
	v_lshl_add_u64 v[6:7], v[8:9], 0, v[18:19]
	global_load_dwordx4 v[6:9], v[6:7], off
	v_div_scale_f32 v1, s[0:1], v11, v11, v13
	v_div_scale_f32 v21, s[0:1], v11, v11, v12
	v_rcp_f32_e32 v22, v1
	v_rcp_f32_e32 v23, v21
	v_lshl_add_u64 v[18:19], v[4:5], 0, v[18:19]
	v_div_scale_f32 v20, vcc, v13, v11, v13
	v_fma_f32 v4, -v1, v22, 1.0
	v_fma_f32 v5, -v21, v23, 1.0
	v_fmac_f32_e32 v22, v4, v22
	v_div_scale_f32 v24, s[0:1], v12, v11, v12
	v_fmac_f32_e32 v23, v5, v23
	v_mul_f32_e32 v4, v20, v22
	v_mul_f32_e32 v5, v24, v23
	v_fma_f32 v25, -v1, v4, v20
	v_fma_f32 v26, -v21, v5, v24
	v_fmac_f32_e32 v4, v25, v22
	v_fmac_f32_e32 v5, v26, v23
	v_fma_f32 v1, -v1, v4, v20
	v_fma_f32 v20, -v21, v5, v24
	v_div_fmas_f32 v1, v1, v22, v4
	s_mov_b64 vcc, s[0:1]
	v_div_fixup_f32 v4, v1, v11, v13
	v_div_fmas_f32 v1, v20, v23, v5
	v_div_fixup_f32 v12, v1, v11, v12
	s_waitcnt vmcnt(1)
	v_pk_mul_f32 v[14:15], v[4:5], v[14:15] op_sel_hi:[0,1]
	v_pk_mul_f32 v[16:17], v[4:5], v[16:17] op_sel_hi:[0,1]
	s_waitcnt vmcnt(0)
	v_pk_fma_f32 v[4:5], v[12:13], v[6:7], v[14:15] op_sel_hi:[0,1,1]
	v_pk_fma_f32 v[6:7], v[12:13], v[8:9], v[16:17] op_sel_hi:[0,1,1]
	global_store_dwordx4 v[18:19], v[4:7], off
.LBB2_11:
	s_or_b64 exec, exec, s[4:5]
	s_cmp_lg_u64 s[6:7], 0
	s_cselect_b64 s[0:1], -1, 0
	v_cmp_eq_u32_e32 vcc, 0, v0
	s_and_b64 s[0:1], s[0:1], vcc
	s_and_saveexec_b64 s[4:5], s[0:1]
	s_cbranch_execz .LBB2_13
; %bb.12:
	s_mov_b32 s0, 0x800000
	v_mov_b32_e32 v0, 0x4f800000
	v_cmp_gt_f32_e32 vcc, s0, v11
	s_mov_b32 s0, 0x3f317217
	s_nop 0
	v_cndmask_b32_e32 v0, 1.0, v0, vcc
	v_mul_f32_e32 v0, v11, v0
	v_log_f32_e32 v4, v0
	v_lshl_add_u64 v[0:1], v[2:3], 2, s[6:7]
	v_mul_f32_e32 v2, 0x3f317217, v4
	v_fma_f32 v3, v4, s0, -v2
	v_fmamk_f32 v3, v4, 0x3377d1cf, v3
	s_mov_b32 s0, 0x7f800000
	v_add_f32_e32 v2, v2, v3
	v_cmp_lt_f32_e64 s[0:1], |v4|, s0
	v_mov_b32_e32 v3, 0x41b17218
	v_cndmask_b32_e32 v3, 0, v3, vcc
	v_cndmask_b32_e64 v2, v4, v2, s[0:1]
	v_sub_f32_e32 v2, v2, v3
	v_add_f32_e32 v2, v10, v2
	global_store_dword v[0:1], v2, off
.LBB2_13:
	s_or_b64 exec, exec, s[4:5]
                                        ; implicit-def: $vgpr0
                                        ; implicit-def: $vgpr2_vgpr3
                                        ; implicit-def: $vgpr10
                                        ; implicit-def: $vgpr1
                                        ; implicit-def: $vgpr4_vgpr5
                                        ; implicit-def: $vgpr8_vgpr9
.LBB2_14:
	s_andn2_saveexec_b64 s[0:1], s[2:3]
	s_cbranch_execz .LBB2_19
; %bb.15:
	v_cmp_gt_u32_e32 vcc, s14, v1
	s_and_saveexec_b64 s[0:1], vcc
	s_cbranch_execz .LBB2_17
; %bb.16:
	v_mov_b32_e32 v1, 0
	v_lshlrev_b64 v[12:13], 4, v[0:1]
	v_lshl_add_u64 v[6:7], v[8:9], 0, v[12:13]
	global_load_dwordx4 v[6:9], v[6:7], off
	v_lshl_add_u64 v[4:5], v[4:5], 0, v[12:13]
	s_waitcnt vmcnt(0)
	global_store_dwordx4 v[4:5], v[6:9], off
.LBB2_17:
	s_or_b64 exec, exec, s[0:1]
	s_cmp_lg_u64 s[6:7], 0
	s_cselect_b64 s[0:1], -1, 0
	v_cmp_eq_u32_e32 vcc, 0, v0
	s_and_b64 s[0:1], s[0:1], vcc
	s_and_saveexec_b64 s[2:3], s[0:1]
	s_cbranch_execz .LBB2_19
; %bb.18:
	v_lshl_add_u64 v[0:1], v[2:3], 2, s[6:7]
	global_store_dword v[0:1], v10, off
.LBB2_19:
	s_endpgm
	.section	.rodata,"a",@progbits
	.p2align	6, 0x0
	.amdhsa_kernel _ZN4vllm24merge_attn_states_kernelIffLj128ELb0EEEvPT0_PfPKT_PKfS6_S8_jjjjjjS8_
		.amdhsa_group_segment_fixed_size 0
		.amdhsa_private_segment_fixed_size 0
		.amdhsa_kernarg_size 80
		.amdhsa_user_sgpr_count 2
		.amdhsa_user_sgpr_dispatch_ptr 0
		.amdhsa_user_sgpr_queue_ptr 0
		.amdhsa_user_sgpr_kernarg_segment_ptr 1
		.amdhsa_user_sgpr_dispatch_id 0
		.amdhsa_user_sgpr_kernarg_preload_length 0
		.amdhsa_user_sgpr_kernarg_preload_offset 0
		.amdhsa_user_sgpr_private_segment_size 0
		.amdhsa_uses_dynamic_stack 0
		.amdhsa_enable_private_segment 0
		.amdhsa_system_sgpr_workgroup_id_x 1
		.amdhsa_system_sgpr_workgroup_id_y 0
		.amdhsa_system_sgpr_workgroup_id_z 0
		.amdhsa_system_sgpr_workgroup_info 0
		.amdhsa_system_vgpr_workitem_id 0
		.amdhsa_next_free_vgpr 27
		.amdhsa_next_free_sgpr 22
		.amdhsa_accum_offset 28
		.amdhsa_reserve_vcc 1
		.amdhsa_float_round_mode_32 0
		.amdhsa_float_round_mode_16_64 0
		.amdhsa_float_denorm_mode_32 3
		.amdhsa_float_denorm_mode_16_64 3
		.amdhsa_dx10_clamp 1
		.amdhsa_ieee_mode 1
		.amdhsa_fp16_overflow 0
		.amdhsa_tg_split 0
		.amdhsa_exception_fp_ieee_invalid_op 0
		.amdhsa_exception_fp_denorm_src 0
		.amdhsa_exception_fp_ieee_div_zero 0
		.amdhsa_exception_fp_ieee_overflow 0
		.amdhsa_exception_fp_ieee_underflow 0
		.amdhsa_exception_fp_ieee_inexact 0
		.amdhsa_exception_int_div_zero 0
	.end_amdhsa_kernel
	.section	.text._ZN4vllm24merge_attn_states_kernelIffLj128ELb0EEEvPT0_PfPKT_PKfS6_S8_jjjjjjS8_,"axG",@progbits,_ZN4vllm24merge_attn_states_kernelIffLj128ELb0EEEvPT0_PfPKT_PKfS6_S8_jjjjjjS8_,comdat
.Lfunc_end2:
	.size	_ZN4vllm24merge_attn_states_kernelIffLj128ELb0EEEvPT0_PfPKT_PKfS6_S8_jjjjjjS8_, .Lfunc_end2-_ZN4vllm24merge_attn_states_kernelIffLj128ELb0EEEvPT0_PfPKT_PKfS6_S8_jjjjjjS8_
                                        ; -- End function
	.section	.AMDGPU.csdata,"",@progbits
; Kernel info:
; codeLenInByte = 1424
; NumSgprs: 28
; NumVgprs: 27
; NumAgprs: 0
; TotalNumVgprs: 27
; ScratchSize: 0
; MemoryBound: 1
; FloatMode: 240
; IeeeMode: 1
; LDSByteSize: 0 bytes/workgroup (compile time only)
; SGPRBlocks: 3
; VGPRBlocks: 3
; NumSGPRsForWavesPerEU: 28
; NumVGPRsForWavesPerEU: 27
; AccumOffset: 28
; Occupancy: 8
; WaveLimiterHint : 0
; COMPUTE_PGM_RSRC2:SCRATCH_EN: 0
; COMPUTE_PGM_RSRC2:USER_SGPR: 2
; COMPUTE_PGM_RSRC2:TRAP_HANDLER: 0
; COMPUTE_PGM_RSRC2:TGID_X_EN: 1
; COMPUTE_PGM_RSRC2:TGID_Y_EN: 0
; COMPUTE_PGM_RSRC2:TGID_Z_EN: 0
; COMPUTE_PGM_RSRC2:TIDIG_COMP_CNT: 0
; COMPUTE_PGM_RSRC3_GFX90A:ACCUM_OFFSET: 6
; COMPUTE_PGM_RSRC3_GFX90A:TG_SPLIT: 0
	.section	.text._ZN4vllm24merge_attn_states_kernelItN3c1013Float8_e4m3fnELj128ELb1EEEvPT0_PfPKT_PKfS8_SA_jjjjjjSA_,"axG",@progbits,_ZN4vllm24merge_attn_states_kernelItN3c1013Float8_e4m3fnELj128ELb1EEEvPT0_PfPKT_PKfS8_SA_jjjjjjSA_,comdat
	.protected	_ZN4vllm24merge_attn_states_kernelItN3c1013Float8_e4m3fnELj128ELb1EEEvPT0_PfPKT_PKfS8_SA_jjjjjjSA_ ; -- Begin function _ZN4vllm24merge_attn_states_kernelItN3c1013Float8_e4m3fnELj128ELb1EEEvPT0_PfPKT_PKfS8_SA_jjjjjjSA_
	.globl	_ZN4vllm24merge_attn_states_kernelItN3c1013Float8_e4m3fnELj128ELb1EEEvPT0_PfPKT_PKfS8_SA_jjjjjjSA_
	.p2align	8
	.type	_ZN4vllm24merge_attn_states_kernelItN3c1013Float8_e4m3fnELj128ELb1EEEvPT0_PfPKT_PKfS8_SA_jjjjjjSA_,@function
_ZN4vllm24merge_attn_states_kernelItN3c1013Float8_e4m3fnELj128ELb1EEEvPT0_PfPKT_PKfS8_SA_jjjjjjSA_: ; @_ZN4vllm24merge_attn_states_kernelItN3c1013Float8_e4m3fnELj128ELb1EEEvPT0_PfPKT_PKfS8_SA_jjjjjjSA_
; %bb.0:
	s_load_dwordx4 s[12:15], s[0:1], 0x30
	v_lshl_add_u32 v0, s2, 7, v0
	s_waitcnt lgkmcnt(0)
	s_lshr_b32 s2, s14, 3
	s_mul_i32 s3, s13, s12
	s_mul_i32 s3, s3, s2
	v_cmp_gt_u32_e32 vcc, s3, v0
	s_and_saveexec_b64 s[4:5], vcc
	s_cbranch_execz .LBB3_163
; %bb.1:
	v_cvt_f32_u32_e32 v1, s2
	s_load_dwordx8 s[4:11], s[0:1], 0x0
	s_load_dwordx4 s[20:23], s[0:1], 0x40
	s_load_dwordx4 s[16:19], s[0:1], 0x20
	s_sub_i32 s0, 0, s2
	v_rcp_iflag_f32_e32 v1, v1
	v_cvt_f32_u32_e32 v2, s13
	s_waitcnt lgkmcnt(0)
	v_mov_b32_e32 v6, s16
	v_mul_f32_e32 v1, 0x4f7ffffe, v1
	v_cvt_u32_f32_e32 v1, v1
	v_rcp_iflag_f32_e32 v2, v2
	v_mov_b32_e32 v7, s17
	v_mul_lo_u32 v3, s0, v1
	v_mul_hi_u32 v3, v1, v3
	v_add_u32_e32 v1, v1, v3
	v_mul_hi_u32 v1, v0, v1
	v_mul_lo_u32 v3, v1, s2
	v_sub_u32_e32 v3, v0, v3
	v_add_u32_e32 v4, 1, v1
	v_cmp_le_u32_e32 vcc, s2, v3
	v_mul_f32_e32 v2, 0x4f7ffffe, v2
	v_cvt_u32_f32_e32 v2, v2
	v_cndmask_b32_e32 v1, v1, v4, vcc
	v_subrev_u32_e32 v4, s2, v3
	v_cndmask_b32_e32 v3, v3, v4, vcc
	v_add_u32_e32 v4, 1, v1
	v_cmp_le_u32_e32 vcc, s2, v3
	s_sub_i32 s0, 0, s13
	s_nop 0
	v_cndmask_b32_e32 v1, v1, v4, vcc
	v_mul_lo_u32 v3, v1, s2
	v_sub_u32_e32 v4, v0, v3
	v_mul_lo_u32 v0, s0, v2
	v_mul_hi_u32 v0, v2, v0
	v_add_u32_e32 v0, v2, v0
	s_load_dword s2, s[22:23], 0x0
	v_mul_hi_u32 v0, v1, v0
	v_mul_lo_u32 v2, v0, s13
	v_sub_u32_e32 v2, v1, v2
	v_add_u32_e32 v3, 1, v0
	v_cmp_le_u32_e32 vcc, s13, v2
	s_waitcnt lgkmcnt(0)
	v_div_scale_f32 v12, s[0:1], s2, s2, 1.0
	v_cndmask_b32_e32 v0, v0, v3, vcc
	v_subrev_u32_e32 v3, s13, v2
	v_cndmask_b32_e32 v2, v2, v3, vcc
	v_rcp_f32_e32 v13, v12
	v_add_u32_e32 v3, 1, v0
	v_cmp_le_u32_e32 vcc, s13, v2
	v_mul_lo_u32 v2, v1, s15
	v_mul_lo_u32 v10, v1, s20
	v_cndmask_b32_e32 v8, v0, v3, vcc
	v_mov_b32_e32 v3, 0
	v_mul_lo_u32 v0, v8, s13
	v_mov_b32_e32 v11, v3
	v_sub_u32_e32 v9, v1, v0
	v_lshl_add_u64 v[0:1], v[2:3], 1, v[6:7]
	v_lshl_add_u64 v[6:7], s[4:5], 0, v[10:11]
	v_fma_f32 v10, -v12, v13, 1.0
	v_fmac_f32_e32 v13, v10, v13
	v_div_scale_f32 v10, vcc, 1.0, s2, 1.0
	v_mul_f32_e32 v11, v10, v13
	v_fma_f32 v14, -v12, v11, v10
	v_fmac_f32_e32 v11, v14, v13
	v_fma_f32 v10, -v12, v11, v10
	v_div_fmas_f32 v10, v10, v13, v11
	v_lshlrev_b32_e32 v5, 3, v4
	v_div_fixup_f32 v10, v10, s2, 1.0
	v_cmp_le_u32_e32 vcc, s21, v8
	s_and_saveexec_b64 s[0:1], vcc
	s_xor_b64 s[0:1], exec, s[0:1]
	s_cbranch_execz .LBB3_55
; %bb.2:
	v_cmp_gt_u32_e32 vcc, s14, v5
	s_and_saveexec_b64 s[2:3], vcc
	s_cbranch_execz .LBB3_52
; %bb.3:
	v_mov_b32_e32 v5, 0
	v_lshl_add_u64 v[0:1], v[4:5], 4, v[0:1]
	global_load_dwordx4 v[0:3], v[0:1], off
	s_mov_b32 s13, 0x43f00000
	v_mov_b32_e32 v11, 0x7f
	s_waitcnt vmcnt(0)
	v_and_b32_e32 v12, 0xffff, v0
	;;#ASMSTART
	v_cvt_f32_f16 v12, v12;
	;;#ASMEND
	s_nop 0
	v_mul_f32_e32 v12, v10, v12
	v_min_f32_e32 v12, 0x43e00000, v12
	v_max_f32_e32 v13, 0xc3e00000, v12
	v_and_b32_e32 v14, 0x7fffffff, v13
	v_cmp_gt_u32_e32 vcc, s13, v14
	v_mov_b32_e32 v12, 0x7f
	s_and_saveexec_b64 s[4:5], vcc
	s_cbranch_execz .LBB3_9
; %bb.4:
	s_mov_b32 s15, 0x3c7fffff
	v_cmp_lt_u32_e32 vcc, s15, v14
                                        ; implicit-def: $vgpr12
	s_and_saveexec_b64 s[16:17], vcc
	s_xor_b64 s[16:17], exec, s[16:17]
; %bb.5:
	v_bfe_u32 v12, v13, 20, 1
	s_mov_b32 s15, 0x407ffff
	v_add3_u32 v12, v13, v12, s15
	v_lshrrev_b32_e32 v12, 20, v12
; %bb.6:
	s_andn2_saveexec_b64 s[16:17], s[16:17]
; %bb.7:
	s_mov_b32 s15, 0x46800000
	v_add_f32_e64 v12, |v13|, s15
; %bb.8:
	s_or_b64 exec, exec, s[16:17]
.LBB3_9:
	s_or_b64 exec, exec, s[4:5]
	v_lshrrev_b32_e32 v0, 16, v0
	;;#ASMSTART
	v_cvt_f32_f16 v0, v0;
	;;#ASMEND
	s_nop 0
	v_mul_f32_e32 v0, v10, v0
	v_min_f32_e32 v0, 0x43e00000, v0
	v_max_f32_e32 v0, 0xc3e00000, v0
	v_and_b32_e32 v14, 0x7fffffff, v0
	v_cmp_gt_u32_e32 vcc, s13, v14
	s_and_saveexec_b64 s[4:5], vcc
	s_cbranch_execz .LBB3_15
; %bb.10:
	s_mov_b32 s13, 0x3c7fffff
	v_cmp_lt_u32_e32 vcc, s13, v14
                                        ; implicit-def: $vgpr11
	s_and_saveexec_b64 s[16:17], vcc
	s_xor_b64 s[16:17], exec, s[16:17]
; %bb.11:
	v_bfe_u32 v11, v0, 20, 1
	s_mov_b32 s13, 0x407ffff
	v_add3_u32 v11, v0, v11, s13
	v_lshrrev_b32_e32 v11, 20, v11
; %bb.12:
	s_andn2_saveexec_b64 s[16:17], s[16:17]
; %bb.13:
	s_mov_b32 s13, 0x46800000
	v_add_f32_e64 v11, |v0|, s13
; %bb.14:
	s_or_b64 exec, exec, s[16:17]
.LBB3_15:
	s_or_b64 exec, exec, s[4:5]
	v_and_b32_e32 v14, 0xffff, v1
	;;#ASMSTART
	v_cvt_f32_f16 v14, v14;
	;;#ASMEND
	s_mov_b32 s13, 0x43f00000
	v_mul_f32_e32 v14, v10, v14
	v_min_f32_e32 v14, 0x43e00000, v14
	v_max_f32_e32 v16, 0xc3e00000, v14
	v_and_b32_e32 v17, 0x7fffffff, v16
	v_cmp_gt_u32_e32 vcc, s13, v17
	v_mov_b32_e32 v15, 0x7f
	v_mov_b32_e32 v14, 0x7f
	s_and_saveexec_b64 s[4:5], vcc
	s_cbranch_execz .LBB3_21
; %bb.16:
	s_mov_b32 s15, 0x3c7fffff
	v_cmp_lt_u32_e32 vcc, s15, v17
                                        ; implicit-def: $vgpr14
	s_and_saveexec_b64 s[16:17], vcc
	s_xor_b64 s[16:17], exec, s[16:17]
; %bb.17:
	v_bfe_u32 v14, v16, 20, 1
	s_mov_b32 s15, 0x407ffff
	v_add3_u32 v14, v16, v14, s15
	v_lshrrev_b32_e32 v14, 20, v14
; %bb.18:
	s_andn2_saveexec_b64 s[16:17], s[16:17]
; %bb.19:
	s_mov_b32 s15, 0x46800000
	v_add_f32_e64 v14, |v16|, s15
; %bb.20:
	s_or_b64 exec, exec, s[16:17]
.LBB3_21:
	s_or_b64 exec, exec, s[4:5]
	v_lshrrev_b32_e32 v1, 16, v1
	;;#ASMSTART
	v_cvt_f32_f16 v1, v1;
	;;#ASMEND
	s_nop 0
	v_mul_f32_e32 v1, v10, v1
	v_min_f32_e32 v1, 0x43e00000, v1
	v_max_f32_e32 v1, 0xc3e00000, v1
	v_and_b32_e32 v17, 0x7fffffff, v1
	v_cmp_gt_u32_e32 vcc, s13, v17
	s_and_saveexec_b64 s[4:5], vcc
	s_cbranch_execz .LBB3_27
; %bb.22:
	s_mov_b32 s13, 0x3c7fffff
	v_cmp_lt_u32_e32 vcc, s13, v17
                                        ; implicit-def: $vgpr15
	s_and_saveexec_b64 s[16:17], vcc
	s_xor_b64 s[16:17], exec, s[16:17]
; %bb.23:
	v_bfe_u32 v15, v1, 20, 1
	s_mov_b32 s13, 0x407ffff
	v_add3_u32 v15, v1, v15, s13
	v_lshrrev_b32_e32 v15, 20, v15
; %bb.24:
	s_andn2_saveexec_b64 s[16:17], s[16:17]
; %bb.25:
	s_mov_b32 s13, 0x46800000
	v_add_f32_e64 v15, |v1|, s13
; %bb.26:
	s_or_b64 exec, exec, s[16:17]
.LBB3_27:
	s_or_b64 exec, exec, s[4:5]
	v_and_b32_e32 v17, 0xffff, v2
	;;#ASMSTART
	v_cvt_f32_f16 v17, v17;
	;;#ASMEND
	s_mov_b32 s13, 0x43f00000
	v_mul_f32_e32 v17, v10, v17
	v_min_f32_e32 v17, 0x43e00000, v17
	v_max_f32_e32 v17, 0xc3e00000, v17
	v_and_b32_e32 v20, 0x7fffffff, v17
	v_cmp_gt_u32_e32 vcc, s13, v20
	v_mov_b32_e32 v19, 0x7f
	v_mov_b32_e32 v18, 0x7f
	s_and_saveexec_b64 s[4:5], vcc
	s_cbranch_execz .LBB3_33
; %bb.28:
	s_mov_b32 s15, 0x3c7fffff
	v_cmp_lt_u32_e32 vcc, s15, v20
                                        ; implicit-def: $vgpr18
	s_and_saveexec_b64 s[16:17], vcc
	s_xor_b64 s[16:17], exec, s[16:17]
; %bb.29:
	v_bfe_u32 v18, v17, 20, 1
	s_mov_b32 s15, 0x407ffff
	v_add3_u32 v18, v17, v18, s15
	v_lshrrev_b32_e32 v18, 20, v18
; %bb.30:
	s_andn2_saveexec_b64 s[16:17], s[16:17]
; %bb.31:
	s_mov_b32 s15, 0x46800000
	v_add_f32_e64 v18, |v17|, s15
; %bb.32:
	s_or_b64 exec, exec, s[16:17]
.LBB3_33:
	s_or_b64 exec, exec, s[4:5]
	v_lshrrev_b32_e32 v2, 16, v2
	;;#ASMSTART
	v_cvt_f32_f16 v2, v2;
	;;#ASMEND
	s_nop 0
	v_mul_f32_e32 v2, v10, v2
	v_min_f32_e32 v2, 0x43e00000, v2
	v_max_f32_e32 v2, 0xc3e00000, v2
	v_and_b32_e32 v20, 0x7fffffff, v2
	v_cmp_gt_u32_e32 vcc, s13, v20
	s_and_saveexec_b64 s[4:5], vcc
	s_cbranch_execz .LBB3_39
; %bb.34:
	s_mov_b32 s13, 0x3c7fffff
	v_cmp_lt_u32_e32 vcc, s13, v20
                                        ; implicit-def: $vgpr19
	s_and_saveexec_b64 s[16:17], vcc
	s_xor_b64 s[16:17], exec, s[16:17]
; %bb.35:
	v_bfe_u32 v19, v2, 20, 1
	s_mov_b32 s13, 0x407ffff
	v_add3_u32 v19, v2, v19, s13
	v_lshrrev_b32_e32 v19, 20, v19
; %bb.36:
	s_andn2_saveexec_b64 s[16:17], s[16:17]
; %bb.37:
	s_mov_b32 s13, 0x46800000
	v_add_f32_e64 v19, |v2|, s13
; %bb.38:
	s_or_b64 exec, exec, s[16:17]
.LBB3_39:
	s_or_b64 exec, exec, s[4:5]
	v_and_b32_e32 v20, 0xffff, v3
	;;#ASMSTART
	v_cvt_f32_f16 v20, v20;
	;;#ASMEND
	s_mov_b32 s13, 0x43f00000
	v_mul_f32_e32 v20, v10, v20
	v_min_f32_e32 v20, 0x43e00000, v20
	v_max_f32_e32 v20, 0xc3e00000, v20
	v_and_b32_e32 v23, 0x7fffffff, v20
	v_cmp_gt_u32_e32 vcc, s13, v23
	v_mov_b32_e32 v22, 0x7f
	v_mov_b32_e32 v21, 0x7f
	s_and_saveexec_b64 s[4:5], vcc
	s_cbranch_execz .LBB3_45
; %bb.40:
	s_mov_b32 s15, 0x3c7fffff
	v_cmp_lt_u32_e32 vcc, s15, v23
                                        ; implicit-def: $vgpr21
	s_and_saveexec_b64 s[16:17], vcc
	s_xor_b64 s[16:17], exec, s[16:17]
; %bb.41:
	v_bfe_u32 v21, v20, 20, 1
	s_mov_b32 s15, 0x407ffff
	v_add3_u32 v21, v20, v21, s15
	v_lshrrev_b32_e32 v21, 20, v21
; %bb.42:
	s_andn2_saveexec_b64 s[16:17], s[16:17]
; %bb.43:
	s_mov_b32 s15, 0x46800000
	v_add_f32_e64 v21, |v20|, s15
; %bb.44:
	s_or_b64 exec, exec, s[16:17]
.LBB3_45:
	s_or_b64 exec, exec, s[4:5]
	v_lshrrev_b32_e32 v3, 16, v3
	;;#ASMSTART
	v_cvt_f32_f16 v3, v3;
	;;#ASMEND
	s_nop 0
	v_mul_f32_e32 v3, v10, v3
	v_min_f32_e32 v3, 0x43e00000, v3
	v_max_f32_e32 v3, 0xc3e00000, v3
	v_and_b32_e32 v10, 0x7fffffff, v3
	v_cmp_gt_u32_e32 vcc, s13, v10
	s_and_saveexec_b64 s[4:5], vcc
	s_cbranch_execz .LBB3_51
; %bb.46:
	s_mov_b32 s13, 0x3c7fffff
	v_cmp_lt_u32_e32 vcc, s13, v10
                                        ; implicit-def: $vgpr22
	s_and_saveexec_b64 s[16:17], vcc
	s_xor_b64 s[16:17], exec, s[16:17]
; %bb.47:
	v_bfe_u32 v10, v3, 20, 1
	s_mov_b32 s13, 0x407ffff
	v_add3_u32 v10, v3, v10, s13
	v_lshrrev_b32_e32 v22, 20, v10
; %bb.48:
	s_andn2_saveexec_b64 s[16:17], s[16:17]
; %bb.49:
	s_mov_b32 s13, 0x46800000
	v_add_f32_e64 v22, |v3|, s13
; %bb.50:
	s_or_b64 exec, exec, s[16:17]
.LBB3_51:
	s_or_b64 exec, exec, s[4:5]
	s_movk_i32 s4, 0x80
	v_lshrrev_b32_e32 v23, 24, v3
	v_and_b32_sdwa v10, v20, s4 dst_sel:DWORD dst_unused:UNUSED_PAD src0_sel:BYTE_3 src1_sel:DWORD
	v_and_b32_sdwa v20, v2, s4 dst_sel:DWORD dst_unused:UNUSED_PAD src0_sel:BYTE_3 src1_sel:DWORD
	;; [unrolled: 1-line block ×6, first 2 shown]
	v_lshl_add_u64 v[2:3], v[4:5], 3, v[6:7]
	v_and_or_b32 v5, v23, s4, v22
	s_movk_i32 s4, 0xff
	v_and_or_b32 v6, v21, s4, v10
	v_lshlrev_b32_e32 v5, 24, v5
	v_lshlrev_b32_e32 v6, 16, v6
	v_or_b32_e32 v5, v5, v6
	v_and_or_b32 v6, v19, s4, v20
	v_lshlrev_b32_e32 v6, 8, v6
	v_and_or_b32 v7, v18, s4, v17
	v_or3_b32 v7, v5, v6, v7
	v_and_or_b32 v6, v14, s4, v16
	v_lshlrev_b32_e32 v5, 24, v15
	v_and_b32_e32 v1, 0x80000000, v1
	v_lshlrev_b32_e32 v6, 16, v6
	v_and_or_b32 v0, v11, s4, v0
	v_lshlrev_b32_e32 v0, 8, v0
	v_or3_b32 v1, v1, v5, v6
	v_and_or_b32 v5, v12, s4, v13
	v_or3_b32 v6, v1, v0, v5
	global_store_dwordx2 v[2:3], v[6:7], off
.LBB3_52:
	s_or_b64 exec, exec, s[2:3]
	s_cmp_lg_u64 s[6:7], 0
	s_cselect_b64 s[2:3], -1, 0
	v_cmp_eq_u32_e32 vcc, 0, v4
	s_and_b64 s[4:5], s[2:3], vcc
	s_and_saveexec_b64 s[2:3], s[4:5]
	s_cbranch_execz .LBB3_54
; %bb.53:
	v_mad_u64_u32 v[0:1], s[4:5], v9, s12, v[8:9]
	v_mov_b32_e32 v1, 0
	v_lshlrev_b64 v[0:1], 2, v[0:1]
	v_lshl_add_u64 v[2:3], s[18:19], 0, v[0:1]
	global_load_dword v2, v[2:3], off
	v_lshl_add_u64 v[0:1], s[6:7], 0, v[0:1]
	s_waitcnt vmcnt(0)
	global_store_dword v[0:1], v2, off
.LBB3_54:
	s_or_b64 exec, exec, s[2:3]
                                        ; implicit-def: $vgpr2_vgpr3
                                        ; implicit-def: $vgpr8
                                        ; implicit-def: $vgpr9
                                        ; implicit-def: $vgpr4
                                        ; implicit-def: $vgpr5
                                        ; implicit-def: $vgpr6_vgpr7
                                        ; implicit-def: $vgpr10
                                        ; implicit-def: $vgpr0_vgpr1
.LBB3_55:
	s_andn2_saveexec_b64 s[0:1], s[0:1]
	s_cbranch_execz .LBB3_163
; %bb.56:
	v_mad_u64_u32 v[8:9], s[0:1], v9, s12, v[8:9]
	v_mov_b32_e32 v9, 0
	v_lshlrev_b64 v[12:13], 2, v[8:9]
	v_lshl_add_u64 v[14:15], s[10:11], 0, v[12:13]
	global_load_dword v11, v[14:15], off
	v_lshl_add_u64 v[12:13], s[18:19], 0, v[12:13]
	global_load_dword v14, v[12:13], off
	s_mov_b32 s0, 0x7f800000
	v_mov_b32_e32 v12, s8
	v_mov_b32_e32 v13, s9
	;; [unrolled: 1-line block ×3, first 2 shown]
	v_lshl_add_u64 v[2:3], v[2:3], 1, v[12:13]
	s_waitcnt vmcnt(1)
	v_cmp_neq_f32_e64 vcc, |v11|, s0
	s_nop 1
	v_cndmask_b32_e32 v13, v15, v11, vcc
	s_waitcnt vmcnt(0)
	v_cmp_neq_f32_e64 vcc, |v14|, s0
	v_max_f32_e32 v11, v13, v13
	s_nop 0
	v_cndmask_b32_e32 v12, v15, v14, vcc
	v_max_f32_e32 v14, v12, v12
	v_max_f32_e32 v11, v11, v14
	v_cmp_neq_f32_e64 s[0:1], |v11|, s0
	s_and_saveexec_b64 s[2:3], s[0:1]
	s_xor_b64 s[2:3], exec, s[2:3]
	s_cbranch_execz .LBB3_110
; %bb.57:
	v_sub_f32_e32 v13, v13, v11
	s_mov_b32 s0, 0x3fb8aa3b
	v_mul_f32_e32 v14, 0x3fb8aa3b, v13
	v_fma_f32 v15, v13, s0, -v14
	v_rndne_f32_e32 v16, v14
	v_fmac_f32_e32 v15, 0x32a5705f, v13
	v_sub_f32_e32 v14, v14, v16
	v_add_f32_e32 v14, v14, v15
	v_exp_f32_e32 v14, v14
	v_cvt_i32_f32_e32 v15, v16
	v_sub_f32_e32 v12, v12, v11
	s_mov_b32 s1, 0xc2ce8ed0
	v_cmp_ngt_f32_e32 vcc, s1, v13
	v_ldexp_f32 v14, v14, v15
	v_mul_f32_e32 v15, 0x3fb8aa3b, v12
	v_fma_f32 v16, v12, s0, -v15
	v_rndne_f32_e32 v17, v15
	v_fmac_f32_e32 v16, 0x32a5705f, v12
	v_sub_f32_e32 v15, v15, v17
	v_add_f32_e32 v15, v15, v16
	v_exp_f32_e32 v15, v15
	v_cvt_i32_f32_e32 v16, v17
	s_mov_b32 s4, 0x42b17218
	v_cndmask_b32_e32 v14, 0, v14, vcc
	v_mov_b32_e32 v17, 0x7f800000
	v_cmp_nlt_f32_e32 vcc, s4, v13
	s_nop 1
	v_cndmask_b32_e32 v13, v17, v14, vcc
	v_ldexp_f32 v14, v15, v16
	v_cmp_ngt_f32_e32 vcc, s1, v12
	s_nop 1
	v_cndmask_b32_e32 v14, 0, v14, vcc
	v_cmp_nlt_f32_e32 vcc, s4, v12
	s_nop 1
	v_cndmask_b32_e32 v14, v17, v14, vcc
	v_add_f32_e32 v12, v13, v14
	v_cmp_gt_u32_e32 vcc, s14, v5
	s_and_saveexec_b64 s[4:5], vcc
	s_cbranch_execz .LBB3_107
; %bb.58:
	v_mov_b32_e32 v5, 0
	v_lshlrev_b64 v[20:21], 4, v[4:5]
	v_lshl_add_u64 v[2:3], v[2:3], 0, v[20:21]
	global_load_dwordx4 v[16:19], v[2:3], off
	v_lshl_add_u64 v[0:1], v[0:1], 0, v[20:21]
	global_load_dwordx4 v[20:23], v[0:1], off
	v_div_scale_f32 v1, s[0:1], v12, v12, v14
	v_div_scale_f32 v3, s[0:1], v12, v12, v13
	v_rcp_f32_e32 v24, v1
	v_rcp_f32_e32 v25, v3
	v_div_scale_f32 v2, vcc, v14, v12, v14
	v_fma_f32 v26, -v1, v24, 1.0
	v_fma_f32 v27, -v3, v25, 1.0
	v_fmac_f32_e32 v24, v26, v24
	v_div_scale_f32 v15, s[0:1], v13, v12, v13
	v_fmac_f32_e32 v25, v27, v25
	v_mul_f32_e32 v26, v2, v24
	v_mul_f32_e32 v27, v15, v25
	v_fma_f32 v28, -v1, v26, v2
	v_fma_f32 v29, -v3, v27, v15
	v_fmac_f32_e32 v26, v28, v24
	v_fmac_f32_e32 v27, v29, v25
	v_fma_f32 v1, -v1, v26, v2
	v_fma_f32 v2, -v3, v27, v15
	v_div_fmas_f32 v1, v1, v24, v26
	s_mov_b64 vcc, s[0:1]
	v_div_fixup_f32 v3, v1, v12, v14
	v_div_fmas_f32 v1, v2, v25, v27
	v_div_fixup_f32 v13, v1, v12, v13
	s_mov_b32 s10, 0x43f00000
	v_mov_b32_e32 v0, 0x7f
	s_waitcnt vmcnt(1)
	v_lshrrev_b32_e32 v1, 16, v16
	v_and_b32_e32 v16, 0xffff, v16
	s_waitcnt vmcnt(0)
	v_lshrrev_b32_e32 v24, 16, v20
	v_and_b32_e32 v20, 0xffff, v20
	;;#ASMSTART
	v_cvt_f32_f16 v33, v16;
	;;#ASMEND
	;;#ASMSTART
	v_cvt_f32_f16 v34, v20;
	;;#ASMEND
	;; [unrolled: 3-line block ×3, first 2 shown]
	v_lshrrev_b32_e32 v2, 16, v17
	v_mul_f32_e32 v1, v3, v34
	v_fmac_f32_e32 v1, v13, v33
	v_mul_f32_e32 v1, v10, v1
	v_min_f32_e32 v1, 0x43e00000, v1
	v_lshrrev_b32_e32 v15, 16, v19
	v_lshrrev_b32_e32 v25, 16, v21
	;; [unrolled: 1-line block ×3, first 2 shown]
	v_and_b32_e32 v17, 0xffff, v17
	v_and_b32_e32 v26, 0xffff, v21
	;; [unrolled: 1-line block ×4, first 2 shown]
	;;#ASMSTART
	v_cvt_f32_f16 v21, v24;
	;;#ASMEND
	;;#ASMSTART
	v_cvt_f32_f16 v19, v17;
	;;#ASMEND
	;;#ASMSTART
	v_cvt_f32_f16 v20, v26;
	;;#ASMEND
	;;#ASMSTART
	v_cvt_f32_f16 v22, v2;
	;;#ASMEND
	v_max_f32_e32 v2, 0xc3e00000, v1
	v_lshrrev_b32_e32 v14, 16, v18
	v_lshrrev_b32_e32 v29, 16, v23
	v_and_b32_e32 v18, 0xffff, v18
	v_and_b32_e32 v32, 0xffff, v23
	;;#ASMSTART
	v_cvt_f32_f16 v27, v25;
	;;#ASMEND
	;;#ASMSTART
	v_cvt_f32_f16 v25, v18;
	;;#ASMEND
	;; [unrolled: 3-line block ×5, first 2 shown]
	v_and_b32_e32 v28, 0x7fffffff, v2
	v_cmp_gt_u32_e32 vcc, s10, v28
	v_mov_b32_e32 v1, 0x7f
	;;#ASMSTART
	v_cvt_f32_f16 v17, v31;
	;;#ASMEND
	;;#ASMSTART
	v_cvt_f32_f16 v18, v32;
	;;#ASMEND
	;; [unrolled: 3-line block ×4, first 2 shown]
	s_and_saveexec_b64 s[0:1], vcc
	s_cbranch_execz .LBB3_64
; %bb.59:
	s_mov_b32 s8, 0x3c7fffff
	v_cmp_lt_u32_e32 vcc, s8, v28
                                        ; implicit-def: $vgpr1
	s_and_saveexec_b64 s[8:9], vcc
	s_xor_b64 s[8:9], exec, s[8:9]
; %bb.60:
	v_bfe_u32 v1, v2, 20, 1
	s_mov_b32 s11, 0x407ffff
	v_add3_u32 v1, v2, v1, s11
	v_lshrrev_b32_e32 v1, 20, v1
; %bb.61:
	s_andn2_saveexec_b64 s[8:9], s[8:9]
; %bb.62:
	s_mov_b32 s11, 0x46800000
	v_add_f32_e64 v1, |v2|, s11
; %bb.63:
	s_or_b64 exec, exec, s[8:9]
.LBB3_64:
	s_or_b64 exec, exec, s[0:1]
	v_mul_f32_e32 v21, v3, v21
	v_fmac_f32_e32 v21, v13, v16
	v_mul_f32_e32 v16, v10, v21
	v_min_f32_e32 v16, 0x43e00000, v16
	v_max_f32_e32 v16, 0xc3e00000, v16
	v_and_b32_e32 v21, 0x7fffffff, v16
	v_cmp_gt_u32_e32 vcc, s10, v21
	s_and_saveexec_b64 s[0:1], vcc
	s_cbranch_execz .LBB3_70
; %bb.65:
	s_mov_b32 s8, 0x3c7fffff
	v_cmp_lt_u32_e32 vcc, s8, v21
                                        ; implicit-def: $vgpr0
	s_and_saveexec_b64 s[8:9], vcc
	s_xor_b64 s[8:9], exec, s[8:9]
; %bb.66:
	v_bfe_u32 v0, v16, 20, 1
	s_mov_b32 s10, 0x407ffff
	v_add3_u32 v0, v16, v0, s10
	v_lshrrev_b32_e32 v0, 20, v0
; %bb.67:
	s_andn2_saveexec_b64 s[8:9], s[8:9]
; %bb.68:
	s_mov_b32 s10, 0x46800000
	v_add_f32_e64 v0, |v16|, s10
; %bb.69:
	s_or_b64 exec, exec, s[8:9]
.LBB3_70:
	s_or_b64 exec, exec, s[0:1]
	v_mul_f32_e32 v20, v3, v20
	v_fmac_f32_e32 v20, v13, v19
	v_mul_f32_e32 v19, v10, v20
	v_min_f32_e32 v19, 0x43e00000, v19
	v_max_f32_e32 v21, 0xc3e00000, v19
	v_and_b32_e32 v28, 0x7fffffff, v21
	s_mov_b32 s10, 0x43f00000
	v_cmp_gt_u32_e32 vcc, s10, v28
	v_mov_b32_e32 v20, 0x7f
	v_mov_b32_e32 v19, 0x7f
	s_and_saveexec_b64 s[0:1], vcc
	s_cbranch_execz .LBB3_76
; %bb.71:
	s_mov_b32 s8, 0x3c7fffff
	v_cmp_lt_u32_e32 vcc, s8, v28
                                        ; implicit-def: $vgpr19
	s_and_saveexec_b64 s[8:9], vcc
	s_xor_b64 s[8:9], exec, s[8:9]
; %bb.72:
	v_bfe_u32 v19, v21, 20, 1
	s_mov_b32 s11, 0x407ffff
	v_add3_u32 v19, v21, v19, s11
	v_lshrrev_b32_e32 v19, 20, v19
; %bb.73:
	s_andn2_saveexec_b64 s[8:9], s[8:9]
; %bb.74:
	s_mov_b32 s11, 0x46800000
	v_add_f32_e64 v19, |v21|, s11
; %bb.75:
	s_or_b64 exec, exec, s[8:9]
.LBB3_76:
	s_or_b64 exec, exec, s[0:1]
	v_mul_f32_e32 v27, v3, v27
	v_fmac_f32_e32 v27, v13, v22
	v_mul_f32_e32 v22, v10, v27
	v_min_f32_e32 v22, 0x43e00000, v22
	v_max_f32_e32 v22, 0xc3e00000, v22
	v_and_b32_e32 v27, 0x7fffffff, v22
	v_cmp_gt_u32_e32 vcc, s10, v27
	s_and_saveexec_b64 s[0:1], vcc
	s_cbranch_execz .LBB3_82
; %bb.77:
	s_mov_b32 s8, 0x3c7fffff
	v_cmp_lt_u32_e32 vcc, s8, v27
                                        ; implicit-def: $vgpr20
	s_and_saveexec_b64 s[8:9], vcc
	s_xor_b64 s[8:9], exec, s[8:9]
; %bb.78:
	v_bfe_u32 v20, v22, 20, 1
	s_mov_b32 s10, 0x407ffff
	v_add3_u32 v20, v22, v20, s10
	v_lshrrev_b32_e32 v20, 20, v20
; %bb.79:
	s_andn2_saveexec_b64 s[8:9], s[8:9]
; %bb.80:
	s_mov_b32 s10, 0x46800000
	v_add_f32_e64 v20, |v22|, s10
; %bb.81:
	s_or_b64 exec, exec, s[8:9]
.LBB3_82:
	s_or_b64 exec, exec, s[0:1]
	v_mul_f32_e32 v26, v3, v26
	v_fmac_f32_e32 v26, v13, v25
	v_mul_f32_e32 v25, v10, v26
	v_min_f32_e32 v25, 0x43e00000, v25
	v_max_f32_e32 v25, 0xc3e00000, v25
	v_and_b32_e32 v28, 0x7fffffff, v25
	s_mov_b32 s10, 0x43f00000
	v_cmp_gt_u32_e32 vcc, s10, v28
	v_mov_b32_e32 v27, 0x7f
	v_mov_b32_e32 v26, 0x7f
	s_and_saveexec_b64 s[0:1], vcc
	s_cbranch_execz .LBB3_88
; %bb.83:
	s_mov_b32 s8, 0x3c7fffff
	v_cmp_lt_u32_e32 vcc, s8, v28
                                        ; implicit-def: $vgpr26
	s_and_saveexec_b64 s[8:9], vcc
	s_xor_b64 s[8:9], exec, s[8:9]
; %bb.84:
	v_bfe_u32 v26, v25, 20, 1
	s_mov_b32 s11, 0x407ffff
	v_add3_u32 v26, v25, v26, s11
	v_lshrrev_b32_e32 v26, 20, v26
; %bb.85:
	s_andn2_saveexec_b64 s[8:9], s[8:9]
; %bb.86:
	s_mov_b32 s11, 0x46800000
	v_add_f32_e64 v26, |v25|, s11
; %bb.87:
	s_or_b64 exec, exec, s[8:9]
.LBB3_88:
	s_or_b64 exec, exec, s[0:1]
	v_mul_f32_e32 v24, v3, v24
	v_fmac_f32_e32 v24, v13, v23
	v_mul_f32_e32 v23, v10, v24
	v_min_f32_e32 v23, 0x43e00000, v23
	v_max_f32_e32 v23, 0xc3e00000, v23
	v_and_b32_e32 v24, 0x7fffffff, v23
	v_cmp_gt_u32_e32 vcc, s10, v24
	s_and_saveexec_b64 s[0:1], vcc
	s_cbranch_execz .LBB3_94
; %bb.89:
	s_mov_b32 s8, 0x3c7fffff
	v_cmp_lt_u32_e32 vcc, s8, v24
                                        ; implicit-def: $vgpr27
	s_and_saveexec_b64 s[8:9], vcc
	s_xor_b64 s[8:9], exec, s[8:9]
; %bb.90:
	v_bfe_u32 v24, v23, 20, 1
	s_mov_b32 s10, 0x407ffff
	v_add3_u32 v24, v23, v24, s10
	v_lshrrev_b32_e32 v27, 20, v24
; %bb.91:
	s_andn2_saveexec_b64 s[8:9], s[8:9]
; %bb.92:
	s_mov_b32 s10, 0x46800000
	v_add_f32_e64 v27, |v23|, s10
; %bb.93:
	s_or_b64 exec, exec, s[8:9]
.LBB3_94:
	s_or_b64 exec, exec, s[0:1]
	v_mul_f32_e32 v18, v3, v18
	v_fmac_f32_e32 v18, v13, v17
	v_mul_f32_e32 v17, v10, v18
	v_min_f32_e32 v17, 0x43e00000, v17
	v_max_f32_e32 v17, 0xc3e00000, v17
	v_and_b32_e32 v28, 0x7fffffff, v17
	s_mov_b32 s10, 0x43f00000
	v_cmp_gt_u32_e32 vcc, s10, v28
	v_mov_b32_e32 v24, 0x7f
	v_mov_b32_e32 v18, 0x7f
	s_and_saveexec_b64 s[0:1], vcc
	s_cbranch_execz .LBB3_100
; %bb.95:
	s_mov_b32 s8, 0x3c7fffff
	v_cmp_lt_u32_e32 vcc, s8, v28
                                        ; implicit-def: $vgpr18
	s_and_saveexec_b64 s[8:9], vcc
	s_xor_b64 s[8:9], exec, s[8:9]
; %bb.96:
	v_bfe_u32 v18, v17, 20, 1
	s_mov_b32 s11, 0x407ffff
	v_add3_u32 v18, v17, v18, s11
	v_lshrrev_b32_e32 v18, 20, v18
; %bb.97:
	s_andn2_saveexec_b64 s[8:9], s[8:9]
; %bb.98:
	s_mov_b32 s11, 0x46800000
	v_add_f32_e64 v18, |v17|, s11
; %bb.99:
	s_or_b64 exec, exec, s[8:9]
.LBB3_100:
	s_or_b64 exec, exec, s[0:1]
	v_mul_f32_e32 v3, v3, v15
	v_fmac_f32_e32 v3, v13, v14
	v_mul_f32_e32 v3, v10, v3
	v_min_f32_e32 v3, 0x43e00000, v3
	v_max_f32_e32 v3, 0xc3e00000, v3
	v_and_b32_e32 v10, 0x7fffffff, v3
	v_cmp_gt_u32_e32 vcc, s10, v10
	s_and_saveexec_b64 s[0:1], vcc
	s_cbranch_execz .LBB3_106
; %bb.101:
	s_mov_b32 s8, 0x3c7fffff
	v_cmp_lt_u32_e32 vcc, s8, v10
                                        ; implicit-def: $vgpr24
	s_and_saveexec_b64 s[8:9], vcc
	s_xor_b64 s[8:9], exec, s[8:9]
; %bb.102:
	v_bfe_u32 v10, v3, 20, 1
	s_mov_b32 s10, 0x407ffff
	v_add3_u32 v10, v3, v10, s10
	v_lshrrev_b32_e32 v24, 20, v10
; %bb.103:
	s_andn2_saveexec_b64 s[8:9], s[8:9]
; %bb.104:
	s_mov_b32 s10, 0x46800000
	v_add_f32_e64 v24, |v3|, s10
; %bb.105:
	s_or_b64 exec, exec, s[8:9]
.LBB3_106:
	s_or_b64 exec, exec, s[0:1]
	s_movk_i32 s0, 0x80
	v_and_b32_sdwa v15, v21, s0 dst_sel:DWORD dst_unused:UNUSED_PAD src0_sel:BYTE_3 src1_sel:DWORD
	v_lshrrev_b32_e32 v21, 24, v3
	v_and_b32_sdwa v10, v17, s0 dst_sel:DWORD dst_unused:UNUSED_PAD src0_sel:BYTE_3 src1_sel:DWORD
	v_and_b32_sdwa v13, v23, s0 dst_sel:DWORD dst_unused:UNUSED_PAD src0_sel:BYTE_3 src1_sel:DWORD
	;; [unrolled: 1-line block ×5, first 2 shown]
	v_lshl_add_u64 v[2:3], v[4:5], 3, v[6:7]
	v_and_or_b32 v5, v21, s0, v24
	s_movk_i32 s0, 0xff
	v_and_or_b32 v6, v18, s0, v10
	v_lshlrev_b32_e32 v5, 24, v5
	v_lshlrev_b32_e32 v6, 16, v6
	v_or_b32_e32 v5, v5, v6
	v_and_or_b32 v6, v27, s0, v13
	v_lshlrev_b32_e32 v6, 8, v6
	v_and_or_b32 v7, v26, s0, v14
	v_and_or_b32 v10, v19, s0, v15
	v_or3_b32 v7, v5, v6, v7
	v_lshlrev_b32_e32 v5, 24, v20
	v_and_b32_e32 v6, 0x80000000, v22
	v_lshlrev_b32_e32 v10, 16, v10
	v_and_or_b32 v0, v0, s0, v16
	v_lshlrev_b32_e32 v0, 8, v0
	v_or3_b32 v5, v6, v5, v10
	v_and_or_b32 v1, v1, s0, v17
	v_or3_b32 v6, v5, v0, v1
	global_store_dwordx2 v[2:3], v[6:7], off
.LBB3_107:
	s_or_b64 exec, exec, s[4:5]
	s_cmp_lg_u64 s[6:7], 0
	s_cselect_b64 s[0:1], -1, 0
	v_cmp_eq_u32_e32 vcc, 0, v4
	s_and_b64 s[0:1], s[0:1], vcc
	s_and_saveexec_b64 s[4:5], s[0:1]
	s_cbranch_execz .LBB3_109
; %bb.108:
	s_mov_b32 s0, 0x800000
	v_mov_b32_e32 v0, 0x4f800000
	v_cmp_gt_f32_e32 vcc, s0, v12
	s_mov_b32 s0, 0x3f317217
	s_nop 0
	v_cndmask_b32_e32 v0, 1.0, v0, vcc
	v_mul_f32_e32 v0, v12, v0
	v_log_f32_e32 v2, v0
	v_lshl_add_u64 v[0:1], v[8:9], 2, s[6:7]
	v_mul_f32_e32 v3, 0x3f317217, v2
	v_fma_f32 v4, v2, s0, -v3
	v_fmamk_f32 v4, v2, 0x3377d1cf, v4
	s_mov_b32 s0, 0x7f800000
	v_add_f32_e32 v3, v3, v4
	v_cmp_lt_f32_e64 s[0:1], |v2|, s0
	s_nop 1
	v_cndmask_b32_e64 v2, v2, v3, s[0:1]
	v_mov_b32_e32 v3, 0x41b17218
	v_cndmask_b32_e32 v3, 0, v3, vcc
	v_sub_f32_e32 v2, v2, v3
	v_add_f32_e32 v2, v11, v2
	global_store_dword v[0:1], v2, off
.LBB3_109:
	s_or_b64 exec, exec, s[4:5]
                                        ; implicit-def: $vgpr4
                                        ; implicit-def: $vgpr8_vgpr9
                                        ; implicit-def: $vgpr11
                                        ; implicit-def: $vgpr5
                                        ; implicit-def: $vgpr6_vgpr7
                                        ; implicit-def: $vgpr10
                                        ; implicit-def: $vgpr2_vgpr3
.LBB3_110:
	s_andn2_saveexec_b64 s[0:1], s[2:3]
	s_cbranch_execz .LBB3_163
; %bb.111:
	v_cmp_gt_u32_e32 vcc, s14, v5
	s_and_saveexec_b64 s[0:1], vcc
	s_cbranch_execz .LBB3_161
; %bb.112:
	v_mov_b32_e32 v5, 0
	v_lshl_add_u64 v[0:1], v[4:5], 4, v[2:3]
	global_load_dwordx4 v[0:3], v[0:1], off
	s_mov_b32 s8, 0x43f00000
	v_mov_b32_e32 v12, 0x7f
	s_waitcnt vmcnt(0)
	v_and_b32_e32 v13, 0xffff, v0
	;;#ASMSTART
	v_cvt_f32_f16 v13, v13;
	;;#ASMEND
	s_nop 0
	v_mul_f32_e32 v13, v10, v13
	v_min_f32_e32 v13, 0x43e00000, v13
	v_max_f32_e32 v14, 0xc3e00000, v13
	v_and_b32_e32 v15, 0x7fffffff, v14
	v_cmp_gt_u32_e32 vcc, s8, v15
	v_mov_b32_e32 v13, 0x7f
	s_and_saveexec_b64 s[2:3], vcc
	s_cbranch_execz .LBB3_118
; %bb.113:
	s_mov_b32 s4, 0x3c7fffff
	v_cmp_lt_u32_e32 vcc, s4, v15
                                        ; implicit-def: $vgpr13
	s_and_saveexec_b64 s[4:5], vcc
	s_xor_b64 s[4:5], exec, s[4:5]
; %bb.114:
	v_bfe_u32 v13, v14, 20, 1
	s_mov_b32 s9, 0x407ffff
	v_add3_u32 v13, v14, v13, s9
	v_lshrrev_b32_e32 v13, 20, v13
; %bb.115:
	s_andn2_saveexec_b64 s[4:5], s[4:5]
; %bb.116:
	s_mov_b32 s9, 0x46800000
	v_add_f32_e64 v13, |v14|, s9
; %bb.117:
	s_or_b64 exec, exec, s[4:5]
.LBB3_118:
	s_or_b64 exec, exec, s[2:3]
	v_lshrrev_b32_e32 v0, 16, v0
	;;#ASMSTART
	v_cvt_f32_f16 v0, v0;
	;;#ASMEND
	s_nop 0
	v_mul_f32_e32 v0, v10, v0
	v_min_f32_e32 v0, 0x43e00000, v0
	v_max_f32_e32 v0, 0xc3e00000, v0
	v_and_b32_e32 v15, 0x7fffffff, v0
	v_cmp_gt_u32_e32 vcc, s8, v15
	s_and_saveexec_b64 s[2:3], vcc
	s_cbranch_execz .LBB3_124
; %bb.119:
	s_mov_b32 s4, 0x3c7fffff
	v_cmp_lt_u32_e32 vcc, s4, v15
                                        ; implicit-def: $vgpr12
	s_and_saveexec_b64 s[4:5], vcc
	s_xor_b64 s[4:5], exec, s[4:5]
; %bb.120:
	v_bfe_u32 v12, v0, 20, 1
	s_mov_b32 s8, 0x407ffff
	v_add3_u32 v12, v0, v12, s8
	v_lshrrev_b32_e32 v12, 20, v12
; %bb.121:
	s_andn2_saveexec_b64 s[4:5], s[4:5]
; %bb.122:
	s_mov_b32 s8, 0x46800000
	v_add_f32_e64 v12, |v0|, s8
; %bb.123:
	s_or_b64 exec, exec, s[4:5]
.LBB3_124:
	s_or_b64 exec, exec, s[2:3]
	v_and_b32_e32 v15, 0xffff, v1
	;;#ASMSTART
	v_cvt_f32_f16 v15, v15;
	;;#ASMEND
	s_mov_b32 s8, 0x43f00000
	v_mul_f32_e32 v15, v10, v15
	v_min_f32_e32 v15, 0x43e00000, v15
	v_max_f32_e32 v17, 0xc3e00000, v15
	v_and_b32_e32 v18, 0x7fffffff, v17
	v_cmp_gt_u32_e32 vcc, s8, v18
	v_mov_b32_e32 v16, 0x7f
	v_mov_b32_e32 v15, 0x7f
	s_and_saveexec_b64 s[2:3], vcc
	s_cbranch_execz .LBB3_130
; %bb.125:
	s_mov_b32 s4, 0x3c7fffff
	v_cmp_lt_u32_e32 vcc, s4, v18
                                        ; implicit-def: $vgpr15
	s_and_saveexec_b64 s[4:5], vcc
	s_xor_b64 s[4:5], exec, s[4:5]
; %bb.126:
	v_bfe_u32 v15, v17, 20, 1
	s_mov_b32 s9, 0x407ffff
	v_add3_u32 v15, v17, v15, s9
	v_lshrrev_b32_e32 v15, 20, v15
; %bb.127:
	s_andn2_saveexec_b64 s[4:5], s[4:5]
; %bb.128:
	s_mov_b32 s9, 0x46800000
	v_add_f32_e64 v15, |v17|, s9
; %bb.129:
	s_or_b64 exec, exec, s[4:5]
.LBB3_130:
	s_or_b64 exec, exec, s[2:3]
	v_lshrrev_b32_e32 v1, 16, v1
	;;#ASMSTART
	v_cvt_f32_f16 v1, v1;
	;;#ASMEND
	s_nop 0
	v_mul_f32_e32 v1, v10, v1
	v_min_f32_e32 v1, 0x43e00000, v1
	v_max_f32_e32 v1, 0xc3e00000, v1
	v_and_b32_e32 v18, 0x7fffffff, v1
	v_cmp_gt_u32_e32 vcc, s8, v18
	s_and_saveexec_b64 s[2:3], vcc
	s_cbranch_execz .LBB3_136
; %bb.131:
	s_mov_b32 s4, 0x3c7fffff
	v_cmp_lt_u32_e32 vcc, s4, v18
                                        ; implicit-def: $vgpr16
	s_and_saveexec_b64 s[4:5], vcc
	s_xor_b64 s[4:5], exec, s[4:5]
; %bb.132:
	v_bfe_u32 v16, v1, 20, 1
	s_mov_b32 s8, 0x407ffff
	v_add3_u32 v16, v1, v16, s8
	v_lshrrev_b32_e32 v16, 20, v16
; %bb.133:
	s_andn2_saveexec_b64 s[4:5], s[4:5]
; %bb.134:
	s_mov_b32 s8, 0x46800000
	v_add_f32_e64 v16, |v1|, s8
; %bb.135:
	s_or_b64 exec, exec, s[4:5]
.LBB3_136:
	s_or_b64 exec, exec, s[2:3]
	v_and_b32_e32 v18, 0xffff, v2
	;;#ASMSTART
	v_cvt_f32_f16 v18, v18;
	;;#ASMEND
	s_mov_b32 s8, 0x43f00000
	v_mul_f32_e32 v18, v10, v18
	v_min_f32_e32 v18, 0x43e00000, v18
	v_max_f32_e32 v18, 0xc3e00000, v18
	v_and_b32_e32 v21, 0x7fffffff, v18
	v_cmp_gt_u32_e32 vcc, s8, v21
	v_mov_b32_e32 v20, 0x7f
	v_mov_b32_e32 v19, 0x7f
	s_and_saveexec_b64 s[2:3], vcc
	s_cbranch_execz .LBB3_142
; %bb.137:
	s_mov_b32 s4, 0x3c7fffff
	v_cmp_lt_u32_e32 vcc, s4, v21
                                        ; implicit-def: $vgpr19
	s_and_saveexec_b64 s[4:5], vcc
	s_xor_b64 s[4:5], exec, s[4:5]
; %bb.138:
	v_bfe_u32 v19, v18, 20, 1
	s_mov_b32 s9, 0x407ffff
	v_add3_u32 v19, v18, v19, s9
	v_lshrrev_b32_e32 v19, 20, v19
; %bb.139:
	s_andn2_saveexec_b64 s[4:5], s[4:5]
; %bb.140:
	s_mov_b32 s9, 0x46800000
	v_add_f32_e64 v19, |v18|, s9
; %bb.141:
	s_or_b64 exec, exec, s[4:5]
.LBB3_142:
	s_or_b64 exec, exec, s[2:3]
	v_lshrrev_b32_e32 v2, 16, v2
	;;#ASMSTART
	v_cvt_f32_f16 v2, v2;
	;;#ASMEND
	s_nop 0
	v_mul_f32_e32 v2, v10, v2
	v_min_f32_e32 v2, 0x43e00000, v2
	v_max_f32_e32 v2, 0xc3e00000, v2
	v_and_b32_e32 v21, 0x7fffffff, v2
	v_cmp_gt_u32_e32 vcc, s8, v21
	s_and_saveexec_b64 s[2:3], vcc
	s_cbranch_execz .LBB3_148
; %bb.143:
	s_mov_b32 s4, 0x3c7fffff
	v_cmp_lt_u32_e32 vcc, s4, v21
                                        ; implicit-def: $vgpr20
	s_and_saveexec_b64 s[4:5], vcc
	s_xor_b64 s[4:5], exec, s[4:5]
; %bb.144:
	v_bfe_u32 v20, v2, 20, 1
	s_mov_b32 s8, 0x407ffff
	v_add3_u32 v20, v2, v20, s8
	v_lshrrev_b32_e32 v20, 20, v20
; %bb.145:
	s_andn2_saveexec_b64 s[4:5], s[4:5]
; %bb.146:
	s_mov_b32 s8, 0x46800000
	v_add_f32_e64 v20, |v2|, s8
; %bb.147:
	s_or_b64 exec, exec, s[4:5]
.LBB3_148:
	s_or_b64 exec, exec, s[2:3]
	v_and_b32_e32 v21, 0xffff, v3
	;;#ASMSTART
	v_cvt_f32_f16 v21, v21;
	;;#ASMEND
	s_mov_b32 s8, 0x43f00000
	v_mul_f32_e32 v21, v10, v21
	v_min_f32_e32 v21, 0x43e00000, v21
	v_max_f32_e32 v21, 0xc3e00000, v21
	v_and_b32_e32 v24, 0x7fffffff, v21
	v_cmp_gt_u32_e32 vcc, s8, v24
	v_mov_b32_e32 v23, 0x7f
	v_mov_b32_e32 v22, 0x7f
	s_and_saveexec_b64 s[2:3], vcc
	s_cbranch_execz .LBB3_154
; %bb.149:
	s_mov_b32 s4, 0x3c7fffff
	v_cmp_lt_u32_e32 vcc, s4, v24
                                        ; implicit-def: $vgpr22
	s_and_saveexec_b64 s[4:5], vcc
	s_xor_b64 s[4:5], exec, s[4:5]
; %bb.150:
	v_bfe_u32 v22, v21, 20, 1
	s_mov_b32 s9, 0x407ffff
	v_add3_u32 v22, v21, v22, s9
	v_lshrrev_b32_e32 v22, 20, v22
; %bb.151:
	s_andn2_saveexec_b64 s[4:5], s[4:5]
; %bb.152:
	s_mov_b32 s9, 0x46800000
	v_add_f32_e64 v22, |v21|, s9
; %bb.153:
	s_or_b64 exec, exec, s[4:5]
.LBB3_154:
	s_or_b64 exec, exec, s[2:3]
	v_lshrrev_b32_e32 v3, 16, v3
	;;#ASMSTART
	v_cvt_f32_f16 v3, v3;
	;;#ASMEND
	s_nop 0
	v_mul_f32_e32 v3, v10, v3
	v_min_f32_e32 v3, 0x43e00000, v3
	v_max_f32_e32 v3, 0xc3e00000, v3
	v_and_b32_e32 v10, 0x7fffffff, v3
	v_cmp_gt_u32_e32 vcc, s8, v10
	s_and_saveexec_b64 s[2:3], vcc
	s_cbranch_execz .LBB3_160
; %bb.155:
	s_mov_b32 s4, 0x3c7fffff
	v_cmp_lt_u32_e32 vcc, s4, v10
                                        ; implicit-def: $vgpr23
	s_and_saveexec_b64 s[4:5], vcc
	s_xor_b64 s[4:5], exec, s[4:5]
; %bb.156:
	v_bfe_u32 v10, v3, 20, 1
	s_mov_b32 s8, 0x407ffff
	v_add3_u32 v10, v3, v10, s8
	v_lshrrev_b32_e32 v23, 20, v10
; %bb.157:
	s_andn2_saveexec_b64 s[4:5], s[4:5]
; %bb.158:
	s_mov_b32 s8, 0x46800000
	v_add_f32_e64 v23, |v3|, s8
; %bb.159:
	s_or_b64 exec, exec, s[4:5]
.LBB3_160:
	s_or_b64 exec, exec, s[2:3]
	s_movk_i32 s2, 0x80
	v_lshrrev_b32_e32 v24, 24, v3
	v_and_b32_sdwa v10, v21, s2 dst_sel:DWORD dst_unused:UNUSED_PAD src0_sel:BYTE_3 src1_sel:DWORD
	v_and_b32_sdwa v21, v2, s2 dst_sel:DWORD dst_unused:UNUSED_PAD src0_sel:BYTE_3 src1_sel:DWORD
	;; [unrolled: 1-line block ×6, first 2 shown]
	v_lshl_add_u64 v[2:3], v[4:5], 3, v[6:7]
	v_and_or_b32 v5, v24, s2, v23
	s_movk_i32 s2, 0xff
	v_and_or_b32 v6, v22, s2, v10
	v_lshlrev_b32_e32 v5, 24, v5
	v_lshlrev_b32_e32 v6, 16, v6
	v_or_b32_e32 v5, v5, v6
	v_and_or_b32 v6, v20, s2, v21
	v_lshlrev_b32_e32 v6, 8, v6
	v_and_or_b32 v7, v19, s2, v18
	v_or3_b32 v7, v5, v6, v7
	v_and_or_b32 v6, v15, s2, v17
	v_lshlrev_b32_e32 v5, 24, v16
	v_and_b32_e32 v1, 0x80000000, v1
	v_lshlrev_b32_e32 v6, 16, v6
	v_and_or_b32 v0, v12, s2, v0
	v_lshlrev_b32_e32 v0, 8, v0
	v_or3_b32 v1, v1, v5, v6
	v_and_or_b32 v5, v13, s2, v14
	v_or3_b32 v6, v1, v0, v5
	global_store_dwordx2 v[2:3], v[6:7], off
.LBB3_161:
	s_or_b64 exec, exec, s[0:1]
	s_cmp_lg_u64 s[6:7], 0
	s_cselect_b64 s[0:1], -1, 0
	v_cmp_eq_u32_e32 vcc, 0, v4
	s_and_b64 s[0:1], s[0:1], vcc
	s_and_saveexec_b64 s[2:3], s[0:1]
	s_cbranch_execz .LBB3_163
; %bb.162:
	v_lshl_add_u64 v[0:1], v[8:9], 2, s[6:7]
	global_store_dword v[0:1], v11, off
.LBB3_163:
	s_endpgm
	.section	.rodata,"a",@progbits
	.p2align	6, 0x0
	.amdhsa_kernel _ZN4vllm24merge_attn_states_kernelItN3c1013Float8_e4m3fnELj128ELb1EEEvPT0_PfPKT_PKfS8_SA_jjjjjjSA_
		.amdhsa_group_segment_fixed_size 0
		.amdhsa_private_segment_fixed_size 0
		.amdhsa_kernarg_size 80
		.amdhsa_user_sgpr_count 2
		.amdhsa_user_sgpr_dispatch_ptr 0
		.amdhsa_user_sgpr_queue_ptr 0
		.amdhsa_user_sgpr_kernarg_segment_ptr 1
		.amdhsa_user_sgpr_dispatch_id 0
		.amdhsa_user_sgpr_kernarg_preload_length 0
		.amdhsa_user_sgpr_kernarg_preload_offset 0
		.amdhsa_user_sgpr_private_segment_size 0
		.amdhsa_uses_dynamic_stack 0
		.amdhsa_enable_private_segment 0
		.amdhsa_system_sgpr_workgroup_id_x 1
		.amdhsa_system_sgpr_workgroup_id_y 0
		.amdhsa_system_sgpr_workgroup_id_z 0
		.amdhsa_system_sgpr_workgroup_info 0
		.amdhsa_system_vgpr_workitem_id 0
		.amdhsa_next_free_vgpr 35
		.amdhsa_next_free_sgpr 24
		.amdhsa_accum_offset 36
		.amdhsa_reserve_vcc 1
		.amdhsa_float_round_mode_32 0
		.amdhsa_float_round_mode_16_64 0
		.amdhsa_float_denorm_mode_32 3
		.amdhsa_float_denorm_mode_16_64 3
		.amdhsa_dx10_clamp 1
		.amdhsa_ieee_mode 1
		.amdhsa_fp16_overflow 0
		.amdhsa_tg_split 0
		.amdhsa_exception_fp_ieee_invalid_op 0
		.amdhsa_exception_fp_denorm_src 0
		.amdhsa_exception_fp_ieee_div_zero 0
		.amdhsa_exception_fp_ieee_overflow 0
		.amdhsa_exception_fp_ieee_underflow 0
		.amdhsa_exception_fp_ieee_inexact 0
		.amdhsa_exception_int_div_zero 0
	.end_amdhsa_kernel
	.section	.text._ZN4vllm24merge_attn_states_kernelItN3c1013Float8_e4m3fnELj128ELb1EEEvPT0_PfPKT_PKfS8_SA_jjjjjjSA_,"axG",@progbits,_ZN4vllm24merge_attn_states_kernelItN3c1013Float8_e4m3fnELj128ELb1EEEvPT0_PfPKT_PKfS8_SA_jjjjjjSA_,comdat
.Lfunc_end3:
	.size	_ZN4vllm24merge_attn_states_kernelItN3c1013Float8_e4m3fnELj128ELb1EEEvPT0_PfPKT_PKfS8_SA_jjjjjjSA_, .Lfunc_end3-_ZN4vllm24merge_attn_states_kernelItN3c1013Float8_e4m3fnELj128ELb1EEEvPT0_PfPKT_PKfS8_SA_jjjjjjSA_
                                        ; -- End function
	.section	.AMDGPU.csdata,"",@progbits
; Kernel info:
; codeLenInByte = 5596
; NumSgprs: 30
; NumVgprs: 35
; NumAgprs: 0
; TotalNumVgprs: 35
; ScratchSize: 0
; MemoryBound: 0
; FloatMode: 240
; IeeeMode: 1
; LDSByteSize: 0 bytes/workgroup (compile time only)
; SGPRBlocks: 3
; VGPRBlocks: 4
; NumSGPRsForWavesPerEU: 30
; NumVGPRsForWavesPerEU: 35
; AccumOffset: 36
; Occupancy: 8
; WaveLimiterHint : 0
; COMPUTE_PGM_RSRC2:SCRATCH_EN: 0
; COMPUTE_PGM_RSRC2:USER_SGPR: 2
; COMPUTE_PGM_RSRC2:TRAP_HANDLER: 0
; COMPUTE_PGM_RSRC2:TGID_X_EN: 1
; COMPUTE_PGM_RSRC2:TGID_Y_EN: 0
; COMPUTE_PGM_RSRC2:TGID_Z_EN: 0
; COMPUTE_PGM_RSRC2:TIDIG_COMP_CNT: 0
; COMPUTE_PGM_RSRC3_GFX90A:ACCUM_OFFSET: 8
; COMPUTE_PGM_RSRC3_GFX90A:TG_SPLIT: 0
	.section	.text._ZN4vllm24merge_attn_states_kernelItN3c1015Float8_e4m3fnuzELj128ELb1EEEvPT0_PfPKT_PKfS8_SA_jjjjjjSA_,"axG",@progbits,_ZN4vllm24merge_attn_states_kernelItN3c1015Float8_e4m3fnuzELj128ELb1EEEvPT0_PfPKT_PKfS8_SA_jjjjjjSA_,comdat
	.protected	_ZN4vllm24merge_attn_states_kernelItN3c1015Float8_e4m3fnuzELj128ELb1EEEvPT0_PfPKT_PKfS8_SA_jjjjjjSA_ ; -- Begin function _ZN4vllm24merge_attn_states_kernelItN3c1015Float8_e4m3fnuzELj128ELb1EEEvPT0_PfPKT_PKfS8_SA_jjjjjjSA_
	.globl	_ZN4vllm24merge_attn_states_kernelItN3c1015Float8_e4m3fnuzELj128ELb1EEEvPT0_PfPKT_PKfS8_SA_jjjjjjSA_
	.p2align	8
	.type	_ZN4vllm24merge_attn_states_kernelItN3c1015Float8_e4m3fnuzELj128ELb1EEEvPT0_PfPKT_PKfS8_SA_jjjjjjSA_,@function
_ZN4vllm24merge_attn_states_kernelItN3c1015Float8_e4m3fnuzELj128ELb1EEEvPT0_PfPKT_PKfS8_SA_jjjjjjSA_: ; @_ZN4vllm24merge_attn_states_kernelItN3c1015Float8_e4m3fnuzELj128ELb1EEEvPT0_PfPKT_PKfS8_SA_jjjjjjSA_
; %bb.0:
	s_load_dwordx4 s[12:15], s[0:1], 0x30
	v_lshl_add_u32 v0, s2, 7, v0
	s_waitcnt lgkmcnt(0)
	s_lshr_b32 s2, s14, 3
	s_mul_i32 s3, s13, s12
	s_mul_i32 s3, s3, s2
	v_cmp_gt_u32_e32 vcc, s3, v0
	s_and_saveexec_b64 s[4:5], vcc
	s_cbranch_execz .LBB4_19
; %bb.1:
	v_cvt_f32_u32_e32 v1, s2
	s_load_dwordx8 s[4:11], s[0:1], 0x0
	s_load_dwordx4 s[20:23], s[0:1], 0x40
	s_load_dwordx4 s[16:19], s[0:1], 0x20
	s_sub_i32 s0, 0, s2
	v_rcp_iflag_f32_e32 v1, v1
	v_cvt_f32_u32_e32 v4, s13
	v_mov_b32_e32 v9, 0
	s_waitcnt lgkmcnt(0)
	v_mov_b32_e32 v2, s16
	v_mul_f32_e32 v1, 0x4f7ffffe, v1
	v_cvt_u32_f32_e32 v1, v1
	v_rcp_iflag_f32_e32 v4, v4
	v_mov_b32_e32 v3, s17
	v_mov_b32_e32 v11, v9
	v_mul_lo_u32 v5, s0, v1
	v_mul_hi_u32 v5, v1, v5
	v_add_u32_e32 v1, v1, v5
	v_mul_hi_u32 v1, v0, v1
	v_mul_lo_u32 v5, v1, s2
	v_sub_u32_e32 v5, v0, v5
	v_add_u32_e32 v6, 1, v1
	v_cmp_le_u32_e32 vcc, s2, v5
	s_sub_i32 s0, 0, s13
	s_nop 0
	v_cndmask_b32_e32 v1, v1, v6, vcc
	v_subrev_u32_e32 v6, s2, v5
	v_cndmask_b32_e32 v5, v5, v6, vcc
	v_add_u32_e32 v6, 1, v1
	v_cmp_le_u32_e32 vcc, s2, v5
	s_nop 1
	v_cndmask_b32_e32 v6, v1, v6, vcc
	v_mul_f32_e32 v1, 0x4f7ffffe, v4
	v_cvt_u32_f32_e32 v1, v1
	v_mul_lo_u32 v4, v6, s2
	v_sub_u32_e32 v0, v0, v4
	s_load_dword s2, s[22:23], 0x0
	v_mul_lo_u32 v4, s0, v1
	v_mul_hi_u32 v4, v1, v4
	v_add_u32_e32 v1, v1, v4
	v_mul_hi_u32 v1, v6, v1
	v_mul_lo_u32 v4, v1, s13
	v_sub_u32_e32 v4, v6, v4
	v_add_u32_e32 v5, 1, v1
	v_cmp_le_u32_e32 vcc, s13, v4
	s_waitcnt lgkmcnt(0)
	v_div_scale_f32 v12, s[0:1], s2, s2, 1.0
	v_cndmask_b32_e32 v1, v1, v5, vcc
	v_subrev_u32_e32 v5, s13, v4
	v_cndmask_b32_e32 v4, v4, v5, vcc
	v_rcp_f32_e32 v13, v12
	v_add_u32_e32 v5, 1, v1
	v_cmp_le_u32_e32 vcc, s13, v4
	v_mul_lo_u32 v8, v6, s15
	v_mul_lo_u32 v10, v6, s20
	v_cndmask_b32_e32 v4, v1, v5, vcc
	v_mul_lo_u32 v1, v4, s13
	v_sub_u32_e32 v5, v6, v1
	v_lshl_add_u64 v[6:7], v[8:9], 1, v[2:3]
	v_lshl_add_u64 v[2:3], s[4:5], 0, v[10:11]
	v_fma_f32 v10, -v12, v13, 1.0
	v_fmac_f32_e32 v13, v10, v13
	v_div_scale_f32 v10, vcc, 1.0, s2, 1.0
	v_mul_f32_e32 v11, v10, v13
	v_fma_f32 v14, -v12, v11, v10
	v_fmac_f32_e32 v11, v14, v13
	v_fma_f32 v10, -v12, v11, v10
	v_div_fmas_f32 v10, v10, v13, v11
	v_lshlrev_b32_e32 v1, 3, v0
	v_div_fixup_f32 v10, v10, s2, 1.0
	v_cmp_le_u32_e32 vcc, s21, v4
	s_and_saveexec_b64 s[0:1], vcc
	s_xor_b64 s[0:1], exec, s[0:1]
	s_cbranch_execz .LBB4_7
; %bb.2:
	v_cmp_gt_u32_e32 vcc, s14, v1
	s_and_saveexec_b64 s[2:3], vcc
	s_cbranch_execz .LBB4_4
; %bb.3:
	v_mov_b32_e32 v1, 0
	v_lshl_add_u64 v[6:7], v[0:1], 4, v[6:7]
	global_load_dwordx4 v[6:9], v[6:7], off
	v_mov_b32_e32 v13, v1
	v_mov_b32_e32 v14, v1
	;; [unrolled: 1-line block ×8, first 2 shown]
	v_lshl_add_u64 v[2:3], v[0:1], 3, v[2:3]
	s_mov_b32 s4, 0x7f800000
	s_mov_b32 s5, 0x43700000
	v_mov_b32_e32 v11, 0xc3700000
	v_mov_b32_e32 v12, 8
	s_waitcnt vmcnt(0)
	v_lshrrev_b32_e32 v1, 16, v6
	v_and_b32_e32 v6, 0xffff, v6
	;;#ASMSTART
	v_cvt_f32_f16 v6, v6;
	;;#ASMEND
	v_lshrrev_b32_e32 v21, 16, v7
	v_and_b32_e32 v7, 0xffff, v7
	;;#ASMSTART
	v_cvt_f32_f16 v1, v1;
	;;#ASMEND
	v_mul_f32_e32 v6, v10, v6
	v_lshrrev_b32_e32 v22, 16, v8
	v_lshrrev_b32_e32 v23, 16, v9
	v_and_b32_e32 v8, 0xffff, v8
	v_and_b32_e32 v9, 0xffff, v9
	;;#ASMSTART
	v_cvt_f32_f16 v7, v7;
	;;#ASMEND
	v_mul_f32_e32 v1, v10, v1
	v_min_f32_e32 v6, 0x43600000, v6
	;;#ASMSTART
	v_cvt_f32_f16 v21, v21;
	;;#ASMEND
	;;#ASMSTART
	v_cvt_f32_f16 v8, v8;
	;;#ASMEND
	;; [unrolled: 3-line block ×5, first 2 shown]
	v_mul_f32_e32 v7, v10, v7
	v_min_f32_e32 v1, 0x43600000, v1
	v_max_f32_e32 v6, 0xc3600000, v6
	v_mul_f32_e32 v21, v10, v21
	v_mul_f32_e32 v8, v10, v8
	;; [unrolled: 1-line block ×5, first 2 shown]
	v_min_f32_e32 v7, 0x43600000, v7
	v_max_f32_e32 v1, 0xc3600000, v1
	v_med3_f32 v23, v6, s5, v11
	v_cmp_nlg_f32_e64 vcc, |v6|, s4
	v_min_f32_e32 v21, 0x43600000, v21
	v_max_f32_e32 v7, 0xc3600000, v7
	v_med3_f32 v24, v1, s5, v11
	v_cndmask_b32_e32 v6, v23, v6, vcc
	v_cmp_nlg_f32_e64 vcc, |v1|, s4
	v_min_f32_e32 v8, 0x43600000, v8
	v_max_f32_e32 v21, 0xc3600000, v21
	v_med3_f32 v25, v7, s5, v11
	v_cndmask_b32_e32 v1, v24, v1, vcc
	;; [unrolled: 5-line block ×5, first 2 shown]
	v_cmp_nlg_f32_e64 vcc, |v22|, s4
	v_max_f32_e32 v10, 0xc3600000, v10
	v_med3_f32 v29, v9, s5, v11
	v_cndmask_b32_e32 v22, v28, v22, vcc
	v_cmp_nlg_f32_e64 vcc, |v9|, s4
	v_med3_f32 v11, v10, s5, v11
	v_cvt_pk_fp8_f32 v14, v1, v1
	v_cndmask_b32_e32 v9, v29, v9, vcc
	v_cmp_nlg_f32_e64 vcc, |v10|, s4
	v_cvt_pk_fp8_f32 v19, v9, v9
	v_cvt_pk_fp8_f32 v15, v7, v7
	v_cndmask_b32_e32 v10, v11, v10, vcc
	v_cvt_pk_fp8_f32 v20, v10, v10
	v_cvt_pk_fp8_f32 v18, v22, v22
	;; [unrolled: 1-line block ×5, first 2 shown]
	v_and_b32_e32 v6, 0xff, v19
	v_lshlrev_b32_e32 v1, 24, v20
	v_lshlrev_b32_e32 v6, 16, v6
	v_lshlrev_b32_sdwa v7, v12, v18 dst_sel:DWORD dst_unused:UNUSED_PAD src0_sel:DWORD src1_sel:BYTE_0
	v_and_b32_e32 v8, 0xff, v17
	v_lshlrev_b32_e32 v9, 16, v15
	v_lshlrev_b32_e32 v10, 8, v14
	v_or_b32_e32 v1, v1, v6
	s_mov_b32 s4, 0x4020c0c
	v_or3_b32 v7, v1, v7, v8
	v_perm_b32 v1, v16, v9, s4
	v_and_b32_e32 v6, 0xff, v13
	v_and_b32_e32 v8, 0xff00, v10
	v_or3_b32 v6, v1, v8, v6
	global_store_dwordx2 v[2:3], v[6:7], off
.LBB4_4:
	s_or_b64 exec, exec, s[2:3]
	s_cmp_lg_u64 s[6:7], 0
	s_cselect_b64 s[2:3], -1, 0
	v_cmp_eq_u32_e32 vcc, 0, v0
	s_and_b64 s[4:5], s[2:3], vcc
	s_and_saveexec_b64 s[2:3], s[4:5]
	s_cbranch_execz .LBB4_6
; %bb.5:
	v_mad_u64_u32 v[0:1], s[4:5], v5, s12, v[4:5]
	v_mov_b32_e32 v1, 0
	v_lshlrev_b64 v[0:1], 2, v[0:1]
	v_lshl_add_u64 v[2:3], s[18:19], 0, v[0:1]
	global_load_dword v2, v[2:3], off
	v_lshl_add_u64 v[0:1], s[6:7], 0, v[0:1]
	s_waitcnt vmcnt(0)
	global_store_dword v[0:1], v2, off
.LBB4_6:
	s_or_b64 exec, exec, s[2:3]
                                        ; implicit-def: $vgpr8_vgpr9
                                        ; implicit-def: $vgpr4
                                        ; implicit-def: $vgpr5
                                        ; implicit-def: $vgpr0
                                        ; implicit-def: $vgpr1
                                        ; implicit-def: $vgpr10
                                        ; implicit-def: $vgpr2_vgpr3
                                        ; implicit-def: $vgpr6_vgpr7
.LBB4_7:
	s_andn2_saveexec_b64 s[0:1], s[0:1]
	s_cbranch_execz .LBB4_19
; %bb.8:
	v_mad_u64_u32 v[4:5], s[0:1], v5, s12, v[4:5]
	v_mov_b32_e32 v5, 0
	v_lshlrev_b64 v[12:13], 2, v[4:5]
	v_lshl_add_u64 v[14:15], s[10:11], 0, v[12:13]
	global_load_dword v11, v[14:15], off
	v_lshl_add_u64 v[12:13], s[18:19], 0, v[12:13]
	global_load_dword v14, v[12:13], off
	v_mov_b32_e32 v12, s8
	s_mov_b32 s8, 0x7f800000
	v_mov_b32_e32 v13, s9
	v_mov_b32_e32 v15, 0xff800000
	v_lshl_add_u64 v[8:9], v[8:9], 1, v[12:13]
	s_waitcnt vmcnt(1)
	v_cmp_neq_f32_e64 vcc, |v11|, s8
	s_nop 1
	v_cndmask_b32_e32 v13, v15, v11, vcc
	s_waitcnt vmcnt(0)
	v_cmp_neq_f32_e64 vcc, |v14|, s8
	v_max_f32_e32 v11, v13, v13
	s_nop 0
	v_cndmask_b32_e32 v12, v15, v14, vcc
	v_max_f32_e32 v14, v12, v12
	v_max_f32_e32 v11, v11, v14
	v_cmp_neq_f32_e64 s[0:1], |v11|, s8
	s_and_saveexec_b64 s[2:3], s[0:1]
	s_xor_b64 s[2:3], exec, s[2:3]
	s_cbranch_execz .LBB4_14
; %bb.9:
	v_sub_f32_e32 v13, v13, v11
	s_mov_b32 s0, 0x3fb8aa3b
	v_mul_f32_e32 v14, 0x3fb8aa3b, v13
	v_fma_f32 v15, v13, s0, -v14
	v_rndne_f32_e32 v16, v14
	v_fmac_f32_e32 v15, 0x32a5705f, v13
	v_sub_f32_e32 v14, v14, v16
	v_add_f32_e32 v14, v14, v15
	v_exp_f32_e32 v14, v14
	v_cvt_i32_f32_e32 v15, v16
	v_sub_f32_e32 v12, v12, v11
	s_mov_b32 s1, 0xc2ce8ed0
	v_cmp_ngt_f32_e32 vcc, s1, v13
	v_ldexp_f32 v14, v14, v15
	v_mul_f32_e32 v15, 0x3fb8aa3b, v12
	v_fma_f32 v16, v12, s0, -v15
	v_rndne_f32_e32 v17, v15
	v_fmac_f32_e32 v16, 0x32a5705f, v12
	v_sub_f32_e32 v15, v15, v17
	v_add_f32_e32 v15, v15, v16
	v_exp_f32_e32 v15, v15
	v_cvt_i32_f32_e32 v16, v17
	s_mov_b32 s4, 0x42b17218
	v_cndmask_b32_e32 v14, 0, v14, vcc
	v_mov_b32_e32 v17, 0x7f800000
	v_cmp_nlt_f32_e32 vcc, s4, v13
	s_nop 1
	v_cndmask_b32_e32 v13, v17, v14, vcc
	v_ldexp_f32 v14, v15, v16
	v_cmp_ngt_f32_e32 vcc, s1, v12
	s_nop 1
	v_cndmask_b32_e32 v14, 0, v14, vcc
	v_cmp_nlt_f32_e32 vcc, s4, v12
	s_nop 1
	v_cndmask_b32_e32 v14, v17, v14, vcc
	v_add_f32_e32 v12, v13, v14
	v_cmp_gt_u32_e32 vcc, s14, v1
	s_and_saveexec_b64 s[4:5], vcc
	s_cbranch_execz .LBB4_11
; %bb.10:
	v_mov_b32_e32 v1, 0
	v_lshlrev_b64 v[20:21], 4, v[0:1]
	v_lshl_add_u64 v[8:9], v[8:9], 0, v[20:21]
	v_lshl_add_u64 v[6:7], v[6:7], 0, v[20:21]
	global_load_dwordx4 v[16:19], v[8:9], off
	v_div_scale_f32 v15, s[0:1], v12, v12, v14
	global_load_dwordx4 v[6:9], v[6:7], off
	v_div_scale_f32 v21, s[0:1], v12, v12, v13
	v_rcp_f32_e32 v23, v15
	v_rcp_f32_e32 v24, v21
	v_div_scale_f32 v20, vcc, v14, v12, v14
	v_fma_f32 v27, -v15, v23, 1.0
	v_fma_f32 v28, -v21, v24, 1.0
	v_fmac_f32_e32 v23, v27, v23
	v_div_scale_f32 v22, s[0:1], v13, v12, v13
	v_fmac_f32_e32 v24, v28, v24
	v_mul_f32_e32 v27, v20, v23
	v_mul_f32_e32 v28, v22, v24
	v_fma_f32 v29, -v15, v27, v20
	v_fma_f32 v30, -v21, v28, v22
	v_fmac_f32_e32 v27, v29, v23
	v_fmac_f32_e32 v28, v30, v24
	v_fma_f32 v15, -v15, v27, v20
	v_fma_f32 v20, -v21, v28, v22
	v_div_fmas_f32 v15, v15, v23, v27
	s_mov_b64 vcc, s[0:1]
	v_div_fixup_f32 v14, v15, v12, v14
	v_div_fmas_f32 v15, v20, v24, v28
	v_div_fixup_f32 v13, v15, v12, v13
	s_mov_b32 s9, 0x43700000
	v_mov_b32_e32 v25, 0xc3700000
	v_mov_b32_e32 v26, v1
	v_lshl_add_u64 v[2:3], v[0:1], 3, v[2:3]
	s_mov_b32 s0, 0x4020c0c
	s_waitcnt vmcnt(1)
	v_lshrrev_b32_e32 v15, 16, v16
	v_and_b32_e32 v16, 0xffff, v16
	;;#ASMSTART
	v_cvt_f32_f16 v16, v16;
	;;#ASMEND
	s_waitcnt vmcnt(0)
	v_lshrrev_b32_e32 v23, 16, v6
	v_and_b32_e32 v6, 0xffff, v6
	;;#ASMSTART
	v_cvt_f32_f16 v6, v6;
	;;#ASMEND
	v_lshrrev_b32_e32 v20, 16, v17
	v_mul_f32_e32 v6, v14, v6
	v_fmac_f32_e32 v6, v13, v16
	v_mul_f32_e32 v6, v10, v6
	v_lshrrev_b32_e32 v21, 16, v18
	v_lshrrev_b32_e32 v22, 16, v19
	;; [unrolled: 1-line block ×5, first 2 shown]
	v_and_b32_e32 v17, 0xffff, v17
	v_and_b32_e32 v7, 0xffff, v7
	;; [unrolled: 1-line block ×6, first 2 shown]
	;;#ASMSTART
	v_cvt_f32_f16 v15, v15;
	;;#ASMEND
	;;#ASMSTART
	v_cvt_f32_f16 v23, v23;
	;;#ASMEND
	v_min_f32_e32 v6, 0x43600000, v6
	;;#ASMSTART
	v_cvt_f32_f16 v17, v17;
	;;#ASMEND
	;;#ASMSTART
	v_cvt_f32_f16 v7, v7;
	;;#ASMEND
	;; [unrolled: 3-line block ×10, first 2 shown]
	v_mul_f32_e32 v23, v14, v23
	v_max_f32_e32 v6, 0xc3600000, v6
	;;#ASMSTART
	v_cvt_f32_f16 v22, v22;
	;;#ASMEND
	;;#ASMSTART
	v_cvt_f32_f16 v28, v28;
	;;#ASMEND
	v_mul_f32_e32 v7, v14, v7
	v_mul_f32_e32 v24, v14, v24
	;; [unrolled: 1-line block ×6, first 2 shown]
	v_fmac_f32_e32 v23, v13, v15
	v_med3_f32 v15, v6, s9, v25
	v_cmp_nlg_f32_e64 vcc, |v6|, s8
	v_fmac_f32_e32 v7, v13, v17
	v_fmac_f32_e32 v24, v13, v20
	;; [unrolled: 1-line block ×6, first 2 shown]
	v_mul_f32_e32 v13, v10, v23
	v_cndmask_b32_e32 v6, v15, v6, vcc
	v_cvt_pk_fp8_f32 v26, v6, v6
	v_min_f32_e32 v6, 0x43600000, v13
	v_max_f32_e32 v6, 0xc3600000, v6
	v_med3_f32 v13, v6, s9, v25
	v_cmp_nlg_f32_e64 vcc, |v6|, s8
	v_mov_b32_e32 v15, v1
	v_mov_b32_e32 v16, v1
	v_cndmask_b32_e32 v6, v13, v6, vcc
	v_mov_b32_e32 v13, v1
	v_cvt_pk_fp8_f32 v13, v6, v6
	v_mul_f32_e32 v6, v10, v7
	v_min_f32_e32 v6, 0x43600000, v6
	v_max_f32_e32 v6, 0xc3600000, v6
	v_med3_f32 v7, v6, s9, v25
	v_cmp_nlg_f32_e64 vcc, |v6|, s8
	v_mul_f32_e32 v9, v10, v9
	v_min_f32_e32 v9, 0x43600000, v9
	v_cndmask_b32_e32 v6, v7, v6, vcc
	v_cvt_pk_fp8_f32 v15, v6, v6
	v_mul_f32_e32 v6, v10, v24
	v_min_f32_e32 v6, 0x43600000, v6
	v_max_f32_e32 v6, 0xc3600000, v6
	v_med3_f32 v7, v6, s9, v25
	v_cmp_nlg_f32_e64 vcc, |v6|, s8
	v_max_f32_e32 v9, 0xc3600000, v9
	v_med3_f32 v17, v9, s9, v25
	v_cndmask_b32_e32 v6, v7, v6, vcc
	v_cvt_pk_fp8_f32 v16, v6, v6
	v_mul_f32_e32 v6, v10, v8
	v_min_f32_e32 v6, 0x43600000, v6
	v_max_f32_e32 v6, 0xc3600000, v6
	v_med3_f32 v7, v6, s9, v25
	v_cmp_nlg_f32_e64 vcc, |v6|, s8
	s_nop 1
	v_cndmask_b32_e32 v6, v7, v6, vcc
	v_mov_b32_e32 v7, v1
	v_cvt_pk_fp8_f32 v7, v6, v6
	v_mul_f32_e32 v6, v10, v27
	v_min_f32_e32 v6, 0x43600000, v6
	v_max_f32_e32 v6, 0xc3600000, v6
	v_mul_f32_e32 v10, v10, v14
	v_med3_f32 v8, v6, s9, v25
	v_cmp_nlg_f32_e64 vcc, |v6|, s8
	v_min_f32_e32 v10, 0x43600000, v10
	v_max_f32_e32 v10, 0xc3600000, v10
	v_cndmask_b32_e32 v6, v8, v6, vcc
	v_cmp_nlg_f32_e64 vcc, |v9|, s8
	v_med3_f32 v14, v10, s9, v25
	v_mov_b32_e32 v8, v1
	v_cndmask_b32_e32 v9, v17, v9, vcc
	v_mov_b32_e32 v17, v1
	v_cmp_nlg_f32_e64 vcc, |v10|, s8
	v_cvt_pk_fp8_f32 v17, v9, v9
	v_cvt_pk_fp8_f32 v8, v6, v6
	v_cndmask_b32_e32 v10, v14, v10, vcc
	v_mov_b32_e32 v14, v1
	v_cvt_pk_fp8_f32 v14, v10, v10
	v_and_b32_e32 v6, 0xff, v17
	v_lshlrev_b32_e32 v6, 16, v6
	v_and_b32_e32 v7, 0xff, v7
	v_lshlrev_b32_e32 v1, 24, v14
	v_or_b32_e32 v1, v1, v6
	v_mov_b32_e32 v6, 8
	v_lshlrev_b32_sdwa v6, v6, v8 dst_sel:DWORD dst_unused:UNUSED_PAD src0_sel:DWORD src1_sel:BYTE_0
	v_or3_b32 v7, v1, v6, v7
	v_lshlrev_b32_e32 v1, 16, v15
	v_lshlrev_b32_e32 v6, 8, v13
	v_perm_b32 v1, v16, v1, s0
	v_and_b32_e32 v8, 0xff, v26
	v_and_b32_e32 v6, 0xff00, v6
	v_or3_b32 v6, v1, v6, v8
	global_store_dwordx2 v[2:3], v[6:7], off
.LBB4_11:
	s_or_b64 exec, exec, s[4:5]
	s_cmp_lg_u64 s[6:7], 0
	s_cselect_b64 s[0:1], -1, 0
	v_cmp_eq_u32_e32 vcc, 0, v0
	s_and_b64 s[0:1], s[0:1], vcc
	s_and_saveexec_b64 s[4:5], s[0:1]
	s_cbranch_execz .LBB4_13
; %bb.12:
	s_mov_b32 s0, 0x800000
	v_mov_b32_e32 v0, 0x4f800000
	v_cmp_gt_f32_e32 vcc, s0, v12
	s_mov_b32 s0, 0x3f317217
	s_nop 0
	v_cndmask_b32_e32 v0, 1.0, v0, vcc
	v_mul_f32_e32 v0, v12, v0
	v_log_f32_e32 v2, v0
	v_lshl_add_u64 v[0:1], v[4:5], 2, s[6:7]
	v_mul_f32_e32 v3, 0x3f317217, v2
	v_fma_f32 v4, v2, s0, -v3
	v_fmamk_f32 v4, v2, 0x3377d1cf, v4
	s_mov_b32 s0, 0x7f800000
	v_add_f32_e32 v3, v3, v4
	v_cmp_lt_f32_e64 s[0:1], |v2|, s0
	s_nop 1
	v_cndmask_b32_e64 v2, v2, v3, s[0:1]
	v_mov_b32_e32 v3, 0x41b17218
	v_cndmask_b32_e32 v3, 0, v3, vcc
	v_sub_f32_e32 v2, v2, v3
	v_add_f32_e32 v2, v11, v2
	global_store_dword v[0:1], v2, off
.LBB4_13:
	s_or_b64 exec, exec, s[4:5]
                                        ; implicit-def: $vgpr0
                                        ; implicit-def: $vgpr4_vgpr5
                                        ; implicit-def: $vgpr11
                                        ; implicit-def: $vgpr1
                                        ; implicit-def: $vgpr8_vgpr9
                                        ; implicit-def: $vgpr10
                                        ; implicit-def: $vgpr2_vgpr3
.LBB4_14:
	s_andn2_saveexec_b64 s[0:1], s[2:3]
	s_cbranch_execz .LBB4_19
; %bb.15:
	v_cmp_gt_u32_e32 vcc, s14, v1
	s_and_saveexec_b64 s[0:1], vcc
	s_cbranch_execz .LBB4_17
; %bb.16:
	v_mov_b32_e32 v1, 0
	v_lshl_add_u64 v[6:7], v[0:1], 4, v[8:9]
	global_load_dwordx4 v[6:9], v[6:7], off
	v_mov_b32_e32 v14, v1
	v_mov_b32_e32 v15, v1
	;; [unrolled: 1-line block ×8, first 2 shown]
	v_lshl_add_u64 v[2:3], v[0:1], 3, v[2:3]
	s_mov_b32 s2, 0x7f800000
	s_mov_b32 s3, 0x43700000
	v_mov_b32_e32 v12, 0xc3700000
	v_mov_b32_e32 v13, 8
	s_waitcnt vmcnt(0)
	v_lshrrev_b32_e32 v1, 16, v6
	v_and_b32_e32 v6, 0xffff, v6
	;;#ASMSTART
	v_cvt_f32_f16 v6, v6;
	;;#ASMEND
	v_lshrrev_b32_e32 v22, 16, v7
	v_and_b32_e32 v7, 0xffff, v7
	;;#ASMSTART
	v_cvt_f32_f16 v1, v1;
	;;#ASMEND
	v_mul_f32_e32 v6, v10, v6
	v_lshrrev_b32_e32 v23, 16, v8
	v_lshrrev_b32_e32 v24, 16, v9
	v_and_b32_e32 v8, 0xffff, v8
	v_and_b32_e32 v9, 0xffff, v9
	;;#ASMSTART
	v_cvt_f32_f16 v7, v7;
	;;#ASMEND
	v_mul_f32_e32 v1, v10, v1
	v_min_f32_e32 v6, 0x43600000, v6
	;;#ASMSTART
	v_cvt_f32_f16 v22, v22;
	;;#ASMEND
	;;#ASMSTART
	v_cvt_f32_f16 v8, v8;
	;;#ASMEND
	;; [unrolled: 3-line block ×5, first 2 shown]
	v_mul_f32_e32 v7, v10, v7
	v_min_f32_e32 v1, 0x43600000, v1
	v_max_f32_e32 v6, 0xc3600000, v6
	v_mul_f32_e32 v22, v10, v22
	v_mul_f32_e32 v8, v10, v8
	;; [unrolled: 1-line block ×5, first 2 shown]
	v_min_f32_e32 v7, 0x43600000, v7
	v_max_f32_e32 v1, 0xc3600000, v1
	v_med3_f32 v24, v6, s3, v12
	v_cmp_nlg_f32_e64 vcc, |v6|, s2
	v_min_f32_e32 v22, 0x43600000, v22
	v_max_f32_e32 v7, 0xc3600000, v7
	v_med3_f32 v25, v1, s3, v12
	v_cndmask_b32_e32 v6, v24, v6, vcc
	v_cmp_nlg_f32_e64 vcc, |v1|, s2
	v_min_f32_e32 v8, 0x43600000, v8
	v_max_f32_e32 v22, 0xc3600000, v22
	v_med3_f32 v26, v7, s3, v12
	v_cndmask_b32_e32 v1, v25, v1, vcc
	;; [unrolled: 5-line block ×5, first 2 shown]
	v_cmp_nlg_f32_e64 vcc, |v23|, s2
	v_max_f32_e32 v10, 0xc3600000, v10
	v_med3_f32 v30, v9, s3, v12
	v_cndmask_b32_e32 v23, v29, v23, vcc
	v_cmp_nlg_f32_e64 vcc, |v9|, s2
	v_med3_f32 v12, v10, s3, v12
	v_cvt_pk_fp8_f32 v15, v1, v1
	v_cndmask_b32_e32 v9, v30, v9, vcc
	v_cmp_nlg_f32_e64 vcc, |v10|, s2
	v_cvt_pk_fp8_f32 v20, v9, v9
	v_cvt_pk_fp8_f32 v16, v7, v7
	v_cndmask_b32_e32 v10, v12, v10, vcc
	v_cvt_pk_fp8_f32 v21, v10, v10
	v_cvt_pk_fp8_f32 v19, v23, v23
	;; [unrolled: 1-line block ×5, first 2 shown]
	v_and_b32_e32 v6, 0xff, v20
	v_lshlrev_b32_e32 v1, 24, v21
	v_lshlrev_b32_e32 v6, 16, v6
	v_lshlrev_b32_sdwa v7, v13, v19 dst_sel:DWORD dst_unused:UNUSED_PAD src0_sel:DWORD src1_sel:BYTE_0
	v_and_b32_e32 v8, 0xff, v18
	v_lshlrev_b32_e32 v9, 16, v16
	v_lshlrev_b32_e32 v10, 8, v15
	v_or_b32_e32 v1, v1, v6
	s_mov_b32 s2, 0x4020c0c
	v_or3_b32 v7, v1, v7, v8
	v_perm_b32 v1, v17, v9, s2
	v_and_b32_e32 v6, 0xff, v14
	v_and_b32_e32 v8, 0xff00, v10
	v_or3_b32 v6, v1, v8, v6
	global_store_dwordx2 v[2:3], v[6:7], off
.LBB4_17:
	s_or_b64 exec, exec, s[0:1]
	s_cmp_lg_u64 s[6:7], 0
	s_cselect_b64 s[0:1], -1, 0
	v_cmp_eq_u32_e32 vcc, 0, v0
	s_and_b64 s[0:1], s[0:1], vcc
	s_and_saveexec_b64 s[2:3], s[0:1]
	s_cbranch_execz .LBB4_19
; %bb.18:
	v_lshl_add_u64 v[0:1], v[4:5], 2, s[6:7]
	global_store_dword v[0:1], v11, off
.LBB4_19:
	s_endpgm
	.section	.rodata,"a",@progbits
	.p2align	6, 0x0
	.amdhsa_kernel _ZN4vllm24merge_attn_states_kernelItN3c1015Float8_e4m3fnuzELj128ELb1EEEvPT0_PfPKT_PKfS8_SA_jjjjjjSA_
		.amdhsa_group_segment_fixed_size 0
		.amdhsa_private_segment_fixed_size 0
		.amdhsa_kernarg_size 80
		.amdhsa_user_sgpr_count 2
		.amdhsa_user_sgpr_dispatch_ptr 0
		.amdhsa_user_sgpr_queue_ptr 0
		.amdhsa_user_sgpr_kernarg_segment_ptr 1
		.amdhsa_user_sgpr_dispatch_id 0
		.amdhsa_user_sgpr_kernarg_preload_length 0
		.amdhsa_user_sgpr_kernarg_preload_offset 0
		.amdhsa_user_sgpr_private_segment_size 0
		.amdhsa_uses_dynamic_stack 0
		.amdhsa_enable_private_segment 0
		.amdhsa_system_sgpr_workgroup_id_x 1
		.amdhsa_system_sgpr_workgroup_id_y 0
		.amdhsa_system_sgpr_workgroup_id_z 0
		.amdhsa_system_sgpr_workgroup_info 0
		.amdhsa_system_vgpr_workitem_id 0
		.amdhsa_next_free_vgpr 31
		.amdhsa_next_free_sgpr 24
		.amdhsa_accum_offset 32
		.amdhsa_reserve_vcc 1
		.amdhsa_float_round_mode_32 0
		.amdhsa_float_round_mode_16_64 0
		.amdhsa_float_denorm_mode_32 3
		.amdhsa_float_denorm_mode_16_64 3
		.amdhsa_dx10_clamp 1
		.amdhsa_ieee_mode 1
		.amdhsa_fp16_overflow 0
		.amdhsa_tg_split 0
		.amdhsa_exception_fp_ieee_invalid_op 0
		.amdhsa_exception_fp_denorm_src 0
		.amdhsa_exception_fp_ieee_div_zero 0
		.amdhsa_exception_fp_ieee_overflow 0
		.amdhsa_exception_fp_ieee_underflow 0
		.amdhsa_exception_fp_ieee_inexact 0
		.amdhsa_exception_int_div_zero 0
	.end_amdhsa_kernel
	.section	.text._ZN4vllm24merge_attn_states_kernelItN3c1015Float8_e4m3fnuzELj128ELb1EEEvPT0_PfPKT_PKfS8_SA_jjjjjjSA_,"axG",@progbits,_ZN4vllm24merge_attn_states_kernelItN3c1015Float8_e4m3fnuzELj128ELb1EEEvPT0_PfPKT_PKfS8_SA_jjjjjjSA_,comdat
.Lfunc_end4:
	.size	_ZN4vllm24merge_attn_states_kernelItN3c1015Float8_e4m3fnuzELj128ELb1EEEvPT0_PfPKT_PKfS8_SA_jjjjjjSA_, .Lfunc_end4-_ZN4vllm24merge_attn_states_kernelItN3c1015Float8_e4m3fnuzELj128ELb1EEEvPT0_PfPKT_PKfS8_SA_jjjjjjSA_
                                        ; -- End function
	.section	.AMDGPU.csdata,"",@progbits
; Kernel info:
; codeLenInByte = 3564
; NumSgprs: 30
; NumVgprs: 31
; NumAgprs: 0
; TotalNumVgprs: 31
; ScratchSize: 0
; MemoryBound: 0
; FloatMode: 240
; IeeeMode: 1
; LDSByteSize: 0 bytes/workgroup (compile time only)
; SGPRBlocks: 3
; VGPRBlocks: 3
; NumSGPRsForWavesPerEU: 30
; NumVGPRsForWavesPerEU: 31
; AccumOffset: 32
; Occupancy: 8
; WaveLimiterHint : 0
; COMPUTE_PGM_RSRC2:SCRATCH_EN: 0
; COMPUTE_PGM_RSRC2:USER_SGPR: 2
; COMPUTE_PGM_RSRC2:TRAP_HANDLER: 0
; COMPUTE_PGM_RSRC2:TGID_X_EN: 1
; COMPUTE_PGM_RSRC2:TGID_Y_EN: 0
; COMPUTE_PGM_RSRC2:TGID_Z_EN: 0
; COMPUTE_PGM_RSRC2:TIDIG_COMP_CNT: 0
; COMPUTE_PGM_RSRC3_GFX90A:ACCUM_OFFSET: 7
; COMPUTE_PGM_RSRC3_GFX90A:TG_SPLIT: 0
	.section	.text._ZN4vllm24merge_attn_states_kernelIttLj128ELb0EEEvPT0_PfPKT_PKfS6_S8_jjjjjjS8_,"axG",@progbits,_ZN4vllm24merge_attn_states_kernelIttLj128ELb0EEEvPT0_PfPKT_PKfS6_S8_jjjjjjS8_,comdat
	.protected	_ZN4vllm24merge_attn_states_kernelIttLj128ELb0EEEvPT0_PfPKT_PKfS6_S8_jjjjjjS8_ ; -- Begin function _ZN4vllm24merge_attn_states_kernelIttLj128ELb0EEEvPT0_PfPKT_PKfS6_S8_jjjjjjS8_
	.globl	_ZN4vllm24merge_attn_states_kernelIttLj128ELb0EEEvPT0_PfPKT_PKfS6_S8_jjjjjjS8_
	.p2align	8
	.type	_ZN4vllm24merge_attn_states_kernelIttLj128ELb0EEEvPT0_PfPKT_PKfS6_S8_jjjjjjS8_,@function
_ZN4vllm24merge_attn_states_kernelIttLj128ELb0EEEvPT0_PfPKT_PKfS6_S8_jjjjjjS8_: ; @_ZN4vllm24merge_attn_states_kernelIttLj128ELb0EEEvPT0_PfPKT_PKfS6_S8_jjjjjjS8_
; %bb.0:
	s_load_dwordx4 s[12:15], s[0:1], 0x30
	v_lshl_add_u32 v0, s2, 7, v0
	s_waitcnt lgkmcnt(0)
	s_lshr_b32 s2, s14, 3
	s_mul_i32 s3, s13, s12
	s_mul_i32 s3, s3, s2
	v_cmp_gt_u32_e32 vcc, s3, v0
	s_and_saveexec_b64 s[4:5], vcc
	s_cbranch_execz .LBB5_19
; %bb.1:
	v_cvt_f32_u32_e32 v1, s2
	s_load_dwordx8 s[4:11], s[0:1], 0x0
	s_load_dwordx2 s[20:21], s[0:1], 0x40
	s_load_dwordx4 s[16:19], s[0:1], 0x20
	s_sub_i32 s0, 0, s2
	v_rcp_iflag_f32_e32 v1, v1
	v_cvt_f32_u32_e32 v8, s13
	s_waitcnt lgkmcnt(0)
	v_mov_b32_e32 v2, s4
	v_mov_b32_e32 v3, s5
	v_mul_f32_e32 v1, 0x4f7ffffe, v1
	v_cvt_u32_f32_e32 v1, v1
	v_mov_b32_e32 v6, s16
	v_mov_b32_e32 v7, s17
	v_mul_lo_u32 v4, s0, v1
	v_mul_hi_u32 v4, v1, v4
	v_add_u32_e32 v1, v1, v4
	v_mul_hi_u32 v1, v0, v1
	v_mul_lo_u32 v4, v1, s2
	v_sub_u32_e32 v4, v0, v4
	v_add_u32_e32 v5, 1, v1
	v_cmp_le_u32_e32 vcc, s2, v4
	s_sub_i32 s0, 0, s13
	s_nop 0
	v_cndmask_b32_e32 v1, v1, v5, vcc
	v_subrev_u32_e32 v5, s2, v4
	v_cndmask_b32_e32 v4, v4, v5, vcc
	v_rcp_iflag_f32_e32 v5, v8
	v_add_u32_e32 v8, 1, v1
	v_cmp_le_u32_e32 vcc, s2, v4
	s_nop 1
	v_cndmask_b32_e32 v9, v1, v8, vcc
	v_mul_f32_e32 v1, 0x4f7ffffe, v5
	v_cvt_u32_f32_e32 v1, v1
	v_mul_lo_u32 v4, v9, s2
	v_sub_u32_e32 v0, v0, v4
	v_mul_lo_u32 v8, v9, s15
	v_mul_lo_u32 v4, s0, v1
	v_mul_hi_u32 v4, v1, v4
	v_add_u32_e32 v1, v1, v4
	v_mul_hi_u32 v1, v9, v1
	v_mul_lo_u32 v4, v1, s13
	v_sub_u32_e32 v4, v9, v4
	v_add_u32_e32 v5, 1, v1
	v_cmp_le_u32_e32 vcc, s13, v4
	v_mul_lo_u32 v10, v9, s20
	s_nop 0
	v_cndmask_b32_e32 v1, v1, v5, vcc
	v_subrev_u32_e32 v5, s13, v4
	v_cndmask_b32_e32 v4, v4, v5, vcc
	v_add_u32_e32 v5, 1, v1
	v_cmp_le_u32_e32 vcc, s13, v4
	s_nop 1
	v_cndmask_b32_e32 v4, v1, v5, vcc
	v_mul_lo_u32 v1, v4, s13
	v_sub_u32_e32 v5, v9, v1
	v_mov_b32_e32 v9, 0
	v_mov_b32_e32 v11, v9
	v_lshlrev_b32_e32 v1, 3, v0
	v_lshl_add_u64 v[6:7], v[8:9], 1, v[6:7]
	v_lshl_add_u64 v[2:3], v[10:11], 1, v[2:3]
	v_cmp_le_u32_e32 vcc, s21, v4
	s_and_saveexec_b64 s[0:1], vcc
	s_xor_b64 s[0:1], exec, s[0:1]
	s_cbranch_execz .LBB5_7
; %bb.2:
	v_cmp_gt_u32_e32 vcc, s14, v1
	s_and_saveexec_b64 s[2:3], vcc
	s_cbranch_execz .LBB5_4
; %bb.3:
	v_mov_b32_e32 v1, 0
	v_lshlrev_b64 v[10:11], 4, v[0:1]
	v_lshl_add_u64 v[6:7], v[6:7], 0, v[10:11]
	global_load_dwordx4 v[6:9], v[6:7], off
	v_lshl_add_u64 v[2:3], v[2:3], 0, v[10:11]
	s_waitcnt vmcnt(0)
	global_store_dwordx4 v[2:3], v[6:9], off
.LBB5_4:
	s_or_b64 exec, exec, s[2:3]
	s_cmp_lg_u64 s[6:7], 0
	s_cselect_b64 s[2:3], -1, 0
	v_cmp_eq_u32_e32 vcc, 0, v0
	s_and_b64 s[4:5], s[2:3], vcc
	s_and_saveexec_b64 s[2:3], s[4:5]
	s_cbranch_execz .LBB5_6
; %bb.5:
	v_mad_u64_u32 v[0:1], s[4:5], v5, s12, v[4:5]
	v_mov_b32_e32 v1, 0
	v_lshlrev_b64 v[0:1], 2, v[0:1]
	v_lshl_add_u64 v[2:3], s[18:19], 0, v[0:1]
	global_load_dword v2, v[2:3], off
	v_lshl_add_u64 v[0:1], s[6:7], 0, v[0:1]
	s_waitcnt vmcnt(0)
	global_store_dword v[0:1], v2, off
.LBB5_6:
	s_or_b64 exec, exec, s[2:3]
                                        ; implicit-def: $vgpr8_vgpr9
                                        ; implicit-def: $vgpr4
                                        ; implicit-def: $vgpr5
                                        ; implicit-def: $vgpr0
                                        ; implicit-def: $vgpr1
                                        ; implicit-def: $vgpr2_vgpr3
                                        ; implicit-def: $vgpr6_vgpr7
.LBB5_7:
	s_andn2_saveexec_b64 s[0:1], s[0:1]
	s_cbranch_execz .LBB5_19
; %bb.8:
	v_mad_u64_u32 v[4:5], s[0:1], v5, s12, v[4:5]
	v_mov_b32_e32 v5, 0
	v_lshlrev_b64 v[10:11], 2, v[4:5]
	v_lshl_add_u64 v[12:13], s[10:11], 0, v[10:11]
	global_load_dword v12, v[12:13], off
	v_lshl_add_u64 v[10:11], s[18:19], 0, v[10:11]
	global_load_dword v13, v[10:11], off
	s_mov_b32 s0, 0x7f800000
	v_mov_b32_e32 v14, 0xff800000
	v_mov_b32_e32 v10, s8
	;; [unrolled: 1-line block ×3, first 2 shown]
	v_lshl_add_u64 v[8:9], v[8:9], 1, v[10:11]
	s_waitcnt vmcnt(1)
	v_cmp_neq_f32_e64 vcc, |v12|, s0
	s_nop 1
	v_cndmask_b32_e32 v12, v14, v12, vcc
	s_waitcnt vmcnt(0)
	v_cmp_neq_f32_e64 vcc, |v13|, s0
	v_max_f32_e32 v10, v12, v12
	s_nop 0
	v_cndmask_b32_e32 v11, v14, v13, vcc
	v_max_f32_e32 v13, v11, v11
	v_max_f32_e32 v10, v10, v13
	v_cmp_neq_f32_e64 s[0:1], |v10|, s0
	s_and_saveexec_b64 s[2:3], s[0:1]
	s_xor_b64 s[2:3], exec, s[2:3]
	s_cbranch_execz .LBB5_14
; %bb.9:
	v_sub_f32_e32 v12, v12, v10
	s_mov_b32 s0, 0x3fb8aa3b
	v_mul_f32_e32 v13, 0x3fb8aa3b, v12
	v_fma_f32 v14, v12, s0, -v13
	v_rndne_f32_e32 v15, v13
	v_fmac_f32_e32 v14, 0x32a5705f, v12
	v_sub_f32_e32 v13, v13, v15
	v_add_f32_e32 v13, v13, v14
	v_exp_f32_e32 v13, v13
	v_cvt_i32_f32_e32 v14, v15
	v_sub_f32_e32 v11, v11, v10
	s_mov_b32 s1, 0xc2ce8ed0
	v_cmp_ngt_f32_e32 vcc, s1, v12
	v_ldexp_f32 v13, v13, v14
	v_mul_f32_e32 v14, 0x3fb8aa3b, v11
	v_fma_f32 v15, v11, s0, -v14
	v_rndne_f32_e32 v16, v14
	v_fmac_f32_e32 v15, 0x32a5705f, v11
	v_sub_f32_e32 v14, v14, v16
	v_add_f32_e32 v14, v14, v15
	v_exp_f32_e32 v14, v14
	v_cvt_i32_f32_e32 v15, v16
	s_mov_b32 s4, 0x42b17218
	v_cndmask_b32_e32 v13, 0, v13, vcc
	v_mov_b32_e32 v16, 0x7f800000
	v_cmp_nlt_f32_e32 vcc, s4, v12
	s_nop 1
	v_cndmask_b32_e32 v12, v16, v13, vcc
	v_ldexp_f32 v13, v14, v15
	v_cmp_ngt_f32_e32 vcc, s1, v11
	s_nop 1
	v_cndmask_b32_e32 v13, 0, v13, vcc
	v_cmp_nlt_f32_e32 vcc, s4, v11
	s_nop 1
	v_cndmask_b32_e32 v13, v16, v13, vcc
	v_add_f32_e32 v11, v12, v13
	v_cmp_gt_u32_e32 vcc, s14, v1
	s_and_saveexec_b64 s[4:5], vcc
	s_cbranch_execz .LBB5_11
; %bb.10:
	v_mov_b32_e32 v1, 0
	v_lshlrev_b64 v[18:19], 4, v[0:1]
	v_lshl_add_u64 v[8:9], v[8:9], 0, v[18:19]
	v_lshl_add_u64 v[6:7], v[6:7], 0, v[18:19]
	global_load_dwordx4 v[14:17], v[8:9], off
	v_div_scale_f32 v1, s[0:1], v11, v11, v13
	global_load_dwordx4 v[6:9], v[6:7], off
	v_div_scale_f32 v21, s[0:1], v11, v11, v12
	v_rcp_f32_e32 v22, v1
	v_rcp_f32_e32 v23, v21
	v_div_scale_f32 v20, vcc, v13, v11, v13
	v_fma_f32 v25, -v1, v22, 1.0
	v_fma_f32 v26, -v21, v23, 1.0
	v_fmac_f32_e32 v22, v25, v22
	v_div_scale_f32 v24, s[0:1], v12, v11, v12
	v_fmac_f32_e32 v23, v26, v23
	v_mul_f32_e32 v25, v20, v22
	v_mul_f32_e32 v26, v24, v23
	v_fma_f32 v27, -v1, v25, v20
	v_fma_f32 v28, -v21, v26, v24
	v_fmac_f32_e32 v25, v27, v22
	v_fmac_f32_e32 v26, v28, v23
	v_fma_f32 v1, -v1, v25, v20
	v_fma_f32 v20, -v21, v26, v24
	v_div_fmas_f32 v1, v1, v22, v25
	s_mov_b64 vcc, s[0:1]
	v_div_fixup_f32 v1, v1, v11, v13
	v_div_fmas_f32 v13, v20, v23, v26
	v_div_fixup_f32 v12, v13, v11, v12
	s_mov_b32 s0, 0x5040100
	v_lshl_add_u64 v[2:3], v[2:3], 0, v[18:19]
	s_waitcnt vmcnt(1)
	v_lshrrev_b32_e32 v13, 16, v14
	v_lshrrev_b32_e32 v20, 16, v15
	;; [unrolled: 1-line block ×4, first 2 shown]
	s_waitcnt vmcnt(0)
	v_lshrrev_b32_e32 v23, 16, v6
	v_lshrrev_b32_e32 v24, 16, v7
	;; [unrolled: 1-line block ×4, first 2 shown]
	v_and_b32_e32 v14, 0xffff, v14
	v_and_b32_e32 v6, 0xffff, v6
	;; [unrolled: 1-line block ×8, first 2 shown]
	;;#ASMSTART
	v_cvt_f32_f16 v14, v14;
	;;#ASMEND
	;;#ASMSTART
	v_cvt_f32_f16 v6, v6;
	;;#ASMEND
	;; [unrolled: 3-line block ×14, first 2 shown]
	s_nop 0
	v_mul_f32_e32 v6, v1, v6
	v_mul_f32_e32 v7, v1, v7
	;; [unrolled: 1-line block ×4, first 2 shown]
	;;#ASMSTART
	v_cvt_f32_f16 v22, v22;
	;;#ASMEND
	;;#ASMSTART
	v_cvt_f32_f16 v26, v26;
	;;#ASMEND
	v_mul_f32_e32 v23, v1, v23
	v_mul_f32_e32 v24, v1, v24
	;; [unrolled: 1-line block ×4, first 2 shown]
	v_fmac_f32_e32 v6, v12, v14
	v_fmac_f32_e32 v7, v12, v15
	;; [unrolled: 1-line block ×8, first 2 shown]
	;;#ASMSTART
	v_cvt_f16_f32 v6, v6;

	;;#ASMEND
	;;#ASMSTART
	v_cvt_f16_f32 v12, v23;

	;;#ASMEND
	;; [unrolled: 4-line block ×8, first 2 shown]
	s_nop 0
	v_perm_b32 v6, v12, v6, s0
	v_perm_b32 v7, v13, v7, s0
	;; [unrolled: 1-line block ×4, first 2 shown]
	global_store_dwordx4 v[2:3], v[6:9], off
.LBB5_11:
	s_or_b64 exec, exec, s[4:5]
	s_cmp_lg_u64 s[6:7], 0
	s_cselect_b64 s[0:1], -1, 0
	v_cmp_eq_u32_e32 vcc, 0, v0
	s_and_b64 s[0:1], s[0:1], vcc
	s_and_saveexec_b64 s[4:5], s[0:1]
	s_cbranch_execz .LBB5_13
; %bb.12:
	s_mov_b32 s0, 0x800000
	v_mov_b32_e32 v0, 0x4f800000
	v_cmp_gt_f32_e32 vcc, s0, v11
	s_mov_b32 s0, 0x3f317217
	s_nop 0
	v_cndmask_b32_e32 v0, 1.0, v0, vcc
	v_mul_f32_e32 v0, v11, v0
	v_log_f32_e32 v2, v0
	v_lshl_add_u64 v[0:1], v[4:5], 2, s[6:7]
	v_mul_f32_e32 v3, 0x3f317217, v2
	v_fma_f32 v4, v2, s0, -v3
	v_fmamk_f32 v4, v2, 0x3377d1cf, v4
	s_mov_b32 s0, 0x7f800000
	v_add_f32_e32 v3, v3, v4
	v_cmp_lt_f32_e64 s[0:1], |v2|, s0
	s_nop 1
	v_cndmask_b32_e64 v2, v2, v3, s[0:1]
	v_mov_b32_e32 v3, 0x41b17218
	v_cndmask_b32_e32 v3, 0, v3, vcc
	v_sub_f32_e32 v2, v2, v3
	v_add_f32_e32 v2, v10, v2
	global_store_dword v[0:1], v2, off
.LBB5_13:
	s_or_b64 exec, exec, s[4:5]
                                        ; implicit-def: $vgpr0
                                        ; implicit-def: $vgpr4_vgpr5
                                        ; implicit-def: $vgpr10
                                        ; implicit-def: $vgpr1
                                        ; implicit-def: $vgpr2_vgpr3
                                        ; implicit-def: $vgpr8_vgpr9
.LBB5_14:
	s_andn2_saveexec_b64 s[0:1], s[2:3]
	s_cbranch_execz .LBB5_19
; %bb.15:
	v_cmp_gt_u32_e32 vcc, s14, v1
	s_and_saveexec_b64 s[0:1], vcc
	s_cbranch_execz .LBB5_17
; %bb.16:
	v_mov_b32_e32 v1, 0
	v_lshlrev_b64 v[12:13], 4, v[0:1]
	v_lshl_add_u64 v[6:7], v[8:9], 0, v[12:13]
	global_load_dwordx4 v[6:9], v[6:7], off
	v_lshl_add_u64 v[2:3], v[2:3], 0, v[12:13]
	s_waitcnt vmcnt(0)
	global_store_dwordx4 v[2:3], v[6:9], off
.LBB5_17:
	s_or_b64 exec, exec, s[0:1]
	s_cmp_lg_u64 s[6:7], 0
	s_cselect_b64 s[0:1], -1, 0
	v_cmp_eq_u32_e32 vcc, 0, v0
	s_and_b64 s[0:1], s[0:1], vcc
	s_and_saveexec_b64 s[2:3], s[0:1]
	s_cbranch_execz .LBB5_19
; %bb.18:
	v_lshl_add_u64 v[0:1], v[4:5], 2, s[6:7]
	global_store_dword v[0:1], v10, off
.LBB5_19:
	s_endpgm
	.section	.rodata,"a",@progbits
	.p2align	6, 0x0
	.amdhsa_kernel _ZN4vllm24merge_attn_states_kernelIttLj128ELb0EEEvPT0_PfPKT_PKfS6_S8_jjjjjjS8_
		.amdhsa_group_segment_fixed_size 0
		.amdhsa_private_segment_fixed_size 0
		.amdhsa_kernarg_size 80
		.amdhsa_user_sgpr_count 2
		.amdhsa_user_sgpr_dispatch_ptr 0
		.amdhsa_user_sgpr_queue_ptr 0
		.amdhsa_user_sgpr_kernarg_segment_ptr 1
		.amdhsa_user_sgpr_dispatch_id 0
		.amdhsa_user_sgpr_kernarg_preload_length 0
		.amdhsa_user_sgpr_kernarg_preload_offset 0
		.amdhsa_user_sgpr_private_segment_size 0
		.amdhsa_uses_dynamic_stack 0
		.amdhsa_enable_private_segment 0
		.amdhsa_system_sgpr_workgroup_id_x 1
		.amdhsa_system_sgpr_workgroup_id_y 0
		.amdhsa_system_sgpr_workgroup_id_z 0
		.amdhsa_system_sgpr_workgroup_info 0
		.amdhsa_system_vgpr_workitem_id 0
		.amdhsa_next_free_vgpr 29
		.amdhsa_next_free_sgpr 22
		.amdhsa_accum_offset 32
		.amdhsa_reserve_vcc 1
		.amdhsa_float_round_mode_32 0
		.amdhsa_float_round_mode_16_64 0
		.amdhsa_float_denorm_mode_32 3
		.amdhsa_float_denorm_mode_16_64 3
		.amdhsa_dx10_clamp 1
		.amdhsa_ieee_mode 1
		.amdhsa_fp16_overflow 0
		.amdhsa_tg_split 0
		.amdhsa_exception_fp_ieee_invalid_op 0
		.amdhsa_exception_fp_denorm_src 0
		.amdhsa_exception_fp_ieee_div_zero 0
		.amdhsa_exception_fp_ieee_overflow 0
		.amdhsa_exception_fp_ieee_underflow 0
		.amdhsa_exception_fp_ieee_inexact 0
		.amdhsa_exception_int_div_zero 0
	.end_amdhsa_kernel
	.section	.text._ZN4vllm24merge_attn_states_kernelIttLj128ELb0EEEvPT0_PfPKT_PKfS6_S8_jjjjjjS8_,"axG",@progbits,_ZN4vllm24merge_attn_states_kernelIttLj128ELb0EEEvPT0_PfPKT_PKfS6_S8_jjjjjjS8_,comdat
.Lfunc_end5:
	.size	_ZN4vllm24merge_attn_states_kernelIttLj128ELb0EEEvPT0_PfPKT_PKfS6_S8_jjjjjjS8_, .Lfunc_end5-_ZN4vllm24merge_attn_states_kernelIttLj128ELb0EEEvPT0_PfPKT_PKfS6_S8_jjjjjjS8_
                                        ; -- End function
	.section	.AMDGPU.csdata,"",@progbits
; Kernel info:
; codeLenInByte = 1796
; NumSgprs: 28
; NumVgprs: 29
; NumAgprs: 0
; TotalNumVgprs: 29
; ScratchSize: 0
; MemoryBound: 1
; FloatMode: 240
; IeeeMode: 1
; LDSByteSize: 0 bytes/workgroup (compile time only)
; SGPRBlocks: 3
; VGPRBlocks: 3
; NumSGPRsForWavesPerEU: 28
; NumVGPRsForWavesPerEU: 29
; AccumOffset: 32
; Occupancy: 8
; WaveLimiterHint : 0
; COMPUTE_PGM_RSRC2:SCRATCH_EN: 0
; COMPUTE_PGM_RSRC2:USER_SGPR: 2
; COMPUTE_PGM_RSRC2:TRAP_HANDLER: 0
; COMPUTE_PGM_RSRC2:TGID_X_EN: 1
; COMPUTE_PGM_RSRC2:TGID_Y_EN: 0
; COMPUTE_PGM_RSRC2:TGID_Z_EN: 0
; COMPUTE_PGM_RSRC2:TIDIG_COMP_CNT: 0
; COMPUTE_PGM_RSRC3_GFX90A:ACCUM_OFFSET: 7
; COMPUTE_PGM_RSRC3_GFX90A:TG_SPLIT: 0
	.section	.text._ZN4vllm24merge_attn_states_kernelI14__hip_bfloat16N3c1013Float8_e4m3fnELj128ELb1EEEvPT0_PfPKT_PKfS9_SB_jjjjjjSB_,"axG",@progbits,_ZN4vllm24merge_attn_states_kernelI14__hip_bfloat16N3c1013Float8_e4m3fnELj128ELb1EEEvPT0_PfPKT_PKfS9_SB_jjjjjjSB_,comdat
	.protected	_ZN4vllm24merge_attn_states_kernelI14__hip_bfloat16N3c1013Float8_e4m3fnELj128ELb1EEEvPT0_PfPKT_PKfS9_SB_jjjjjjSB_ ; -- Begin function _ZN4vllm24merge_attn_states_kernelI14__hip_bfloat16N3c1013Float8_e4m3fnELj128ELb1EEEvPT0_PfPKT_PKfS9_SB_jjjjjjSB_
	.globl	_ZN4vllm24merge_attn_states_kernelI14__hip_bfloat16N3c1013Float8_e4m3fnELj128ELb1EEEvPT0_PfPKT_PKfS9_SB_jjjjjjSB_
	.p2align	8
	.type	_ZN4vllm24merge_attn_states_kernelI14__hip_bfloat16N3c1013Float8_e4m3fnELj128ELb1EEEvPT0_PfPKT_PKfS9_SB_jjjjjjSB_,@function
_ZN4vllm24merge_attn_states_kernelI14__hip_bfloat16N3c1013Float8_e4m3fnELj128ELb1EEEvPT0_PfPKT_PKfS9_SB_jjjjjjSB_: ; @_ZN4vllm24merge_attn_states_kernelI14__hip_bfloat16N3c1013Float8_e4m3fnELj128ELb1EEEvPT0_PfPKT_PKfS9_SB_jjjjjjSB_
; %bb.0:
	s_load_dwordx4 s[12:15], s[0:1], 0x30
	v_lshl_add_u32 v0, s2, 7, v0
	s_waitcnt lgkmcnt(0)
	s_lshr_b32 s2, s14, 3
	s_mul_i32 s3, s13, s12
	s_mul_i32 s3, s3, s2
	v_cmp_gt_u32_e32 vcc, s3, v0
	s_and_saveexec_b64 s[4:5], vcc
	s_cbranch_execz .LBB6_163
; %bb.1:
	v_cvt_f32_u32_e32 v1, s2
	s_load_dwordx8 s[4:11], s[0:1], 0x0
	s_load_dwordx4 s[20:23], s[0:1], 0x40
	s_load_dwordx4 s[16:19], s[0:1], 0x20
	s_sub_i32 s0, 0, s2
	v_rcp_iflag_f32_e32 v1, v1
	v_cvt_f32_u32_e32 v2, s13
	s_waitcnt lgkmcnt(0)
	v_mov_b32_e32 v10, s16
	v_mul_f32_e32 v1, 0x4f7ffffe, v1
	v_cvt_u32_f32_e32 v1, v1
	v_rcp_iflag_f32_e32 v2, v2
	v_mov_b32_e32 v11, s17
	v_mul_lo_u32 v3, s0, v1
	v_mul_hi_u32 v3, v1, v3
	v_add_u32_e32 v1, v1, v3
	v_mul_hi_u32 v1, v0, v1
	v_mul_lo_u32 v3, v1, s2
	v_sub_u32_e32 v3, v0, v3
	v_add_u32_e32 v4, 1, v1
	v_cmp_le_u32_e32 vcc, s2, v3
	v_mul_f32_e32 v2, 0x4f7ffffe, v2
	v_cvt_u32_f32_e32 v2, v2
	v_cndmask_b32_e32 v1, v1, v4, vcc
	v_subrev_u32_e32 v4, s2, v3
	v_cndmask_b32_e32 v3, v3, v4, vcc
	v_add_u32_e32 v4, 1, v1
	v_cmp_le_u32_e32 vcc, s2, v3
	s_sub_i32 s0, 0, s13
	s_nop 0
	v_cndmask_b32_e32 v1, v1, v4, vcc
	v_mul_lo_u32 v3, v1, s2
	v_sub_u32_e32 v8, v0, v3
	v_mul_lo_u32 v0, s0, v2
	v_mul_hi_u32 v0, v2, v0
	v_add_u32_e32 v0, v2, v0
	s_load_dword s2, s[22:23], 0x0
	v_mul_hi_u32 v0, v1, v0
	v_mul_lo_u32 v2, v0, s13
	v_sub_u32_e32 v2, v1, v2
	v_add_u32_e32 v3, 1, v0
	v_cmp_le_u32_e32 vcc, s13, v2
	s_waitcnt lgkmcnt(0)
	v_div_scale_f32 v7, s[0:1], s2, s2, 1.0
	v_cndmask_b32_e32 v0, v0, v3, vcc
	v_subrev_u32_e32 v3, s13, v2
	v_cndmask_b32_e32 v2, v2, v3, vcc
	v_rcp_f32_e32 v9, v7
	v_add_u32_e32 v3, 1, v0
	v_cmp_le_u32_e32 vcc, s13, v2
	v_mul_lo_u32 v2, v1, s15
	v_mul_lo_u32 v12, v1, s20
	v_cndmask_b32_e32 v4, v0, v3, vcc
	v_mov_b32_e32 v3, 0
	v_mul_lo_u32 v0, v4, s13
	v_mov_b32_e32 v13, v3
	v_sub_u32_e32 v5, v1, v0
	v_lshl_add_u64 v[0:1], v[2:3], 1, v[10:11]
	v_lshl_add_u64 v[10:11], s[4:5], 0, v[12:13]
	v_fma_f32 v12, -v7, v9, 1.0
	v_fmac_f32_e32 v9, v12, v9
	v_div_scale_f32 v12, vcc, 1.0, s2, 1.0
	v_mul_f32_e32 v13, v12, v9
	v_fma_f32 v14, -v7, v13, v12
	v_fmac_f32_e32 v13, v14, v9
	v_fma_f32 v7, -v7, v13, v12
	v_div_fmas_f32 v7, v7, v9, v13
	v_lshlrev_b32_e32 v6, 3, v8
	v_div_fixup_f32 v15, v7, s2, 1.0
	v_cmp_le_u32_e32 vcc, s21, v4
	s_and_saveexec_b64 s[0:1], vcc
	s_xor_b64 s[0:1], exec, s[0:1]
	s_cbranch_execz .LBB6_55
; %bb.2:
	v_cmp_gt_u32_e32 vcc, s14, v6
	s_and_saveexec_b64 s[2:3], vcc
	s_cbranch_execz .LBB6_52
; %bb.3:
	v_mov_b32_e32 v9, 0
	v_lshl_add_u64 v[0:1], v[8:9], 4, v[0:1]
	global_load_dwordx4 v[0:3], v[0:1], off
	s_mov_b32 s13, 0x43f00000
	v_mov_b32_e32 v6, 0x7f
	s_waitcnt vmcnt(0)
	v_lshlrev_b32_e32 v7, 16, v0
	v_mul_f32_e32 v7, v15, v7
	v_min_f32_e32 v7, 0x43e00000, v7
	v_max_f32_e32 v12, 0xc3e00000, v7
	v_and_b32_e32 v13, 0x7fffffff, v12
	v_cmp_gt_u32_e32 vcc, s13, v13
	v_mov_b32_e32 v7, 0x7f
	s_and_saveexec_b64 s[4:5], vcc
	s_cbranch_execz .LBB6_9
; %bb.4:
	s_mov_b32 s15, 0x3c7fffff
	v_cmp_lt_u32_e32 vcc, s15, v13
                                        ; implicit-def: $vgpr7
	s_and_saveexec_b64 s[16:17], vcc
	s_xor_b64 s[16:17], exec, s[16:17]
; %bb.5:
	v_bfe_u32 v7, v12, 20, 1
	s_mov_b32 s15, 0x407ffff
	v_add3_u32 v7, v12, v7, s15
	v_lshrrev_b32_e32 v7, 20, v7
; %bb.6:
	s_andn2_saveexec_b64 s[16:17], s[16:17]
; %bb.7:
	s_mov_b32 s15, 0x46800000
	v_add_f32_e64 v7, |v12|, s15
; %bb.8:
	s_or_b64 exec, exec, s[16:17]
.LBB6_9:
	s_or_b64 exec, exec, s[4:5]
	v_and_b32_e32 v0, 0xffff0000, v0
	v_mul_f32_e32 v0, v15, v0
	v_min_f32_e32 v0, 0x43e00000, v0
	v_max_f32_e32 v0, 0xc3e00000, v0
	v_and_b32_e32 v13, 0x7fffffff, v0
	v_cmp_gt_u32_e32 vcc, s13, v13
	s_and_saveexec_b64 s[4:5], vcc
	s_cbranch_execz .LBB6_15
; %bb.10:
	s_mov_b32 s13, 0x3c7fffff
	v_cmp_lt_u32_e32 vcc, s13, v13
                                        ; implicit-def: $vgpr6
	s_and_saveexec_b64 s[16:17], vcc
	s_xor_b64 s[16:17], exec, s[16:17]
; %bb.11:
	v_bfe_u32 v6, v0, 20, 1
	s_mov_b32 s13, 0x407ffff
	v_add3_u32 v6, v0, v6, s13
	v_lshrrev_b32_e32 v6, 20, v6
; %bb.12:
	s_andn2_saveexec_b64 s[16:17], s[16:17]
; %bb.13:
	s_mov_b32 s13, 0x46800000
	v_add_f32_e64 v6, |v0|, s13
; %bb.14:
	s_or_b64 exec, exec, s[16:17]
.LBB6_15:
	s_or_b64 exec, exec, s[4:5]
	v_lshlrev_b32_e32 v13, 16, v1
	v_mul_f32_e32 v13, v15, v13
	v_min_f32_e32 v13, 0x43e00000, v13
	v_max_f32_e32 v16, 0xc3e00000, v13
	v_and_b32_e32 v17, 0x7fffffff, v16
	s_mov_b32 s13, 0x43f00000
	v_cmp_gt_u32_e32 vcc, s13, v17
	v_mov_b32_e32 v14, 0x7f
	v_mov_b32_e32 v13, 0x7f
	s_and_saveexec_b64 s[4:5], vcc
	s_cbranch_execz .LBB6_21
; %bb.16:
	s_mov_b32 s15, 0x3c7fffff
	v_cmp_lt_u32_e32 vcc, s15, v17
                                        ; implicit-def: $vgpr13
	s_and_saveexec_b64 s[16:17], vcc
	s_xor_b64 s[16:17], exec, s[16:17]
; %bb.17:
	v_bfe_u32 v13, v16, 20, 1
	s_mov_b32 s15, 0x407ffff
	v_add3_u32 v13, v16, v13, s15
	v_lshrrev_b32_e32 v13, 20, v13
; %bb.18:
	s_andn2_saveexec_b64 s[16:17], s[16:17]
; %bb.19:
	s_mov_b32 s15, 0x46800000
	v_add_f32_e64 v13, |v16|, s15
; %bb.20:
	s_or_b64 exec, exec, s[16:17]
.LBB6_21:
	s_or_b64 exec, exec, s[4:5]
	v_and_b32_e32 v1, 0xffff0000, v1
	v_mul_f32_e32 v1, v15, v1
	v_min_f32_e32 v1, 0x43e00000, v1
	v_max_f32_e32 v1, 0xc3e00000, v1
	v_and_b32_e32 v17, 0x7fffffff, v1
	v_cmp_gt_u32_e32 vcc, s13, v17
	s_and_saveexec_b64 s[4:5], vcc
	s_cbranch_execz .LBB6_27
; %bb.22:
	s_mov_b32 s13, 0x3c7fffff
	v_cmp_lt_u32_e32 vcc, s13, v17
                                        ; implicit-def: $vgpr14
	s_and_saveexec_b64 s[16:17], vcc
	s_xor_b64 s[16:17], exec, s[16:17]
; %bb.23:
	v_bfe_u32 v14, v1, 20, 1
	s_mov_b32 s13, 0x407ffff
	v_add3_u32 v14, v1, v14, s13
	v_lshrrev_b32_e32 v14, 20, v14
; %bb.24:
	s_andn2_saveexec_b64 s[16:17], s[16:17]
; %bb.25:
	s_mov_b32 s13, 0x46800000
	v_add_f32_e64 v14, |v1|, s13
; %bb.26:
	s_or_b64 exec, exec, s[16:17]
.LBB6_27:
	s_or_b64 exec, exec, s[4:5]
	v_lshlrev_b32_e32 v17, 16, v2
	v_mul_f32_e32 v17, v15, v17
	v_min_f32_e32 v17, 0x43e00000, v17
	v_max_f32_e32 v17, 0xc3e00000, v17
	v_and_b32_e32 v20, 0x7fffffff, v17
	s_mov_b32 s13, 0x43f00000
	v_cmp_gt_u32_e32 vcc, s13, v20
	v_mov_b32_e32 v19, 0x7f
	v_mov_b32_e32 v18, 0x7f
	s_and_saveexec_b64 s[4:5], vcc
	s_cbranch_execz .LBB6_33
; %bb.28:
	s_mov_b32 s15, 0x3c7fffff
	v_cmp_lt_u32_e32 vcc, s15, v20
                                        ; implicit-def: $vgpr18
	s_and_saveexec_b64 s[16:17], vcc
	s_xor_b64 s[16:17], exec, s[16:17]
; %bb.29:
	v_bfe_u32 v18, v17, 20, 1
	s_mov_b32 s15, 0x407ffff
	v_add3_u32 v18, v17, v18, s15
	v_lshrrev_b32_e32 v18, 20, v18
; %bb.30:
	s_andn2_saveexec_b64 s[16:17], s[16:17]
; %bb.31:
	s_mov_b32 s15, 0x46800000
	v_add_f32_e64 v18, |v17|, s15
; %bb.32:
	s_or_b64 exec, exec, s[16:17]
.LBB6_33:
	s_or_b64 exec, exec, s[4:5]
	v_and_b32_e32 v2, 0xffff0000, v2
	v_mul_f32_e32 v2, v15, v2
	v_min_f32_e32 v2, 0x43e00000, v2
	v_max_f32_e32 v2, 0xc3e00000, v2
	v_and_b32_e32 v20, 0x7fffffff, v2
	v_cmp_gt_u32_e32 vcc, s13, v20
	s_and_saveexec_b64 s[4:5], vcc
	s_cbranch_execz .LBB6_39
; %bb.34:
	s_mov_b32 s13, 0x3c7fffff
	v_cmp_lt_u32_e32 vcc, s13, v20
                                        ; implicit-def: $vgpr19
	s_and_saveexec_b64 s[16:17], vcc
	s_xor_b64 s[16:17], exec, s[16:17]
; %bb.35:
	v_bfe_u32 v19, v2, 20, 1
	s_mov_b32 s13, 0x407ffff
	v_add3_u32 v19, v2, v19, s13
	v_lshrrev_b32_e32 v19, 20, v19
; %bb.36:
	s_andn2_saveexec_b64 s[16:17], s[16:17]
; %bb.37:
	s_mov_b32 s13, 0x46800000
	v_add_f32_e64 v19, |v2|, s13
; %bb.38:
	s_or_b64 exec, exec, s[16:17]
.LBB6_39:
	s_or_b64 exec, exec, s[4:5]
	v_lshlrev_b32_e32 v20, 16, v3
	v_mul_f32_e32 v20, v15, v20
	v_min_f32_e32 v20, 0x43e00000, v20
	v_max_f32_e32 v20, 0xc3e00000, v20
	v_and_b32_e32 v23, 0x7fffffff, v20
	s_mov_b32 s13, 0x43f00000
	v_cmp_gt_u32_e32 vcc, s13, v23
	v_mov_b32_e32 v22, 0x7f
	v_mov_b32_e32 v21, 0x7f
	s_and_saveexec_b64 s[4:5], vcc
	s_cbranch_execz .LBB6_45
; %bb.40:
	s_mov_b32 s15, 0x3c7fffff
	v_cmp_lt_u32_e32 vcc, s15, v23
                                        ; implicit-def: $vgpr21
	s_and_saveexec_b64 s[16:17], vcc
	s_xor_b64 s[16:17], exec, s[16:17]
; %bb.41:
	v_bfe_u32 v21, v20, 20, 1
	s_mov_b32 s15, 0x407ffff
	v_add3_u32 v21, v20, v21, s15
	v_lshrrev_b32_e32 v21, 20, v21
; %bb.42:
	s_andn2_saveexec_b64 s[16:17], s[16:17]
; %bb.43:
	s_mov_b32 s15, 0x46800000
	v_add_f32_e64 v21, |v20|, s15
; %bb.44:
	s_or_b64 exec, exec, s[16:17]
.LBB6_45:
	s_or_b64 exec, exec, s[4:5]
	v_and_b32_e32 v3, 0xffff0000, v3
	v_mul_f32_e32 v3, v15, v3
	v_min_f32_e32 v3, 0x43e00000, v3
	v_max_f32_e32 v3, 0xc3e00000, v3
	v_and_b32_e32 v15, 0x7fffffff, v3
	v_cmp_gt_u32_e32 vcc, s13, v15
	s_and_saveexec_b64 s[4:5], vcc
	s_cbranch_execz .LBB6_51
; %bb.46:
	s_mov_b32 s13, 0x3c7fffff
	v_cmp_lt_u32_e32 vcc, s13, v15
                                        ; implicit-def: $vgpr22
	s_and_saveexec_b64 s[16:17], vcc
	s_xor_b64 s[16:17], exec, s[16:17]
; %bb.47:
	v_bfe_u32 v15, v3, 20, 1
	s_mov_b32 s13, 0x407ffff
	v_add3_u32 v15, v3, v15, s13
	v_lshrrev_b32_e32 v22, 20, v15
; %bb.48:
	s_andn2_saveexec_b64 s[16:17], s[16:17]
; %bb.49:
	s_mov_b32 s13, 0x46800000
	v_add_f32_e64 v22, |v3|, s13
; %bb.50:
	s_or_b64 exec, exec, s[16:17]
.LBB6_51:
	s_or_b64 exec, exec, s[4:5]
	s_movk_i32 s4, 0x80
	v_lshrrev_b32_e32 v23, 24, v3
	v_and_b32_sdwa v15, v20, s4 dst_sel:DWORD dst_unused:UNUSED_PAD src0_sel:BYTE_3 src1_sel:DWORD
	v_and_b32_sdwa v20, v2, s4 dst_sel:DWORD dst_unused:UNUSED_PAD src0_sel:BYTE_3 src1_sel:DWORD
	v_and_b32_sdwa v17, v17, s4 dst_sel:DWORD dst_unused:UNUSED_PAD src0_sel:BYTE_3 src1_sel:DWORD
	v_and_b32_sdwa v16, v16, s4 dst_sel:DWORD dst_unused:UNUSED_PAD src0_sel:BYTE_3 src1_sel:DWORD
	v_and_b32_sdwa v0, v0, s4 dst_sel:DWORD dst_unused:UNUSED_PAD src0_sel:BYTE_3 src1_sel:DWORD
	v_and_b32_sdwa v12, v12, s4 dst_sel:DWORD dst_unused:UNUSED_PAD src0_sel:BYTE_3 src1_sel:DWORD
	v_lshl_add_u64 v[2:3], v[8:9], 3, v[10:11]
	v_and_or_b32 v9, v23, s4, v22
	s_movk_i32 s4, 0xff
	v_and_or_b32 v10, v21, s4, v15
	v_lshlrev_b32_e32 v9, 24, v9
	v_lshlrev_b32_e32 v10, 16, v10
	v_or_b32_e32 v9, v9, v10
	v_and_or_b32 v10, v19, s4, v20
	v_lshlrev_b32_e32 v10, 8, v10
	v_and_or_b32 v11, v18, s4, v17
	v_or3_b32 v11, v9, v10, v11
	v_and_or_b32 v10, v13, s4, v16
	v_lshlrev_b32_e32 v9, 24, v14
	v_and_b32_e32 v1, 0x80000000, v1
	v_lshlrev_b32_e32 v10, 16, v10
	v_and_or_b32 v0, v6, s4, v0
	v_lshlrev_b32_e32 v0, 8, v0
	v_or3_b32 v1, v1, v9, v10
	v_and_or_b32 v6, v7, s4, v12
	v_or3_b32 v10, v1, v0, v6
	global_store_dwordx2 v[2:3], v[10:11], off
.LBB6_52:
	s_or_b64 exec, exec, s[2:3]
	s_cmp_lg_u64 s[6:7], 0
	s_cselect_b64 s[2:3], -1, 0
	v_cmp_eq_u32_e32 vcc, 0, v8
	s_and_b64 s[4:5], s[2:3], vcc
	s_and_saveexec_b64 s[2:3], s[4:5]
	s_cbranch_execz .LBB6_54
; %bb.53:
	v_mad_u64_u32 v[0:1], s[4:5], v5, s12, v[4:5]
	v_mov_b32_e32 v1, 0
	v_lshlrev_b64 v[0:1], 2, v[0:1]
	v_lshl_add_u64 v[2:3], s[18:19], 0, v[0:1]
	global_load_dword v2, v[2:3], off
	v_lshl_add_u64 v[0:1], s[6:7], 0, v[0:1]
	s_waitcnt vmcnt(0)
	global_store_dword v[0:1], v2, off
.LBB6_54:
	s_or_b64 exec, exec, s[2:3]
                                        ; implicit-def: $vgpr2_vgpr3
                                        ; implicit-def: $vgpr4
                                        ; implicit-def: $vgpr5
                                        ; implicit-def: $vgpr8
                                        ; implicit-def: $vgpr6
                                        ; implicit-def: $vgpr10_vgpr11
                                        ; implicit-def: $vgpr15
                                        ; implicit-def: $vgpr0_vgpr1
.LBB6_55:
	s_andn2_saveexec_b64 s[0:1], s[0:1]
	s_cbranch_execz .LBB6_163
; %bb.56:
	v_mad_u64_u32 v[12:13], s[0:1], v5, s12, v[4:5]
	v_mov_b32_e32 v13, 0
	v_lshlrev_b64 v[4:5], 2, v[12:13]
	v_lshl_add_u64 v[16:17], s[10:11], 0, v[4:5]
	global_load_dword v7, v[16:17], off
	v_lshl_add_u64 v[4:5], s[18:19], 0, v[4:5]
	global_load_dword v9, v[4:5], off
	v_mov_b32_e32 v14, 0x204
	v_mov_b32_e32 v4, s8
	;; [unrolled: 1-line block ×4, first 2 shown]
	v_lshl_add_u64 v[2:3], v[2:3], 1, v[4:5]
	s_mov_b32 s0, 0x7f800000
	s_waitcnt vmcnt(1)
	v_cmp_class_f32_e32 vcc, v7, v14
	s_nop 1
	v_cndmask_b32_e32 v4, v7, v16, vcc
	s_waitcnt vmcnt(0)
	v_cmp_class_f32_e32 vcc, v9, v14
	v_max_f32_e32 v7, v4, v4
	s_nop 0
	v_cndmask_b32_e32 v5, v9, v16, vcc
	v_max_f32_e32 v9, v5, v5
	v_max_f32_e32 v14, v7, v9
	v_cmp_neq_f32_e64 s[0:1], |v14|, s0
	s_and_saveexec_b64 s[2:3], s[0:1]
	s_xor_b64 s[2:3], exec, s[2:3]
	s_cbranch_execz .LBB6_110
; %bb.57:
	v_pk_add_f32 v[4:5], v[4:5], v[14:15] op_sel_hi:[1,0] neg_lo:[0,1] neg_hi:[0,1]
	s_mov_b32 s0, 0x3fb8aa3b
	v_mul_f32_e32 v7, 0x3fb8aa3b, v5
	v_fma_f32 v9, v5, s0, -v7
	v_rndne_f32_e32 v16, v7
	v_fmac_f32_e32 v9, 0x32a5705f, v5
	v_sub_f32_e32 v7, v7, v16
	v_add_f32_e32 v7, v7, v9
	v_exp_f32_e32 v7, v7
	v_cvt_i32_f32_e32 v9, v16
	s_mov_b32 s1, 0xc2ce8ed0
	v_cmp_ngt_f32_e32 vcc, s1, v5
	s_mov_b32 s4, 0x42b17218
	v_ldexp_f32 v7, v7, v9
	v_mul_f32_e32 v9, 0x3fb8aa3b, v4
	v_fma_f32 v16, v4, s0, -v9
	v_rndne_f32_e32 v17, v9
	v_fmac_f32_e32 v16, 0x32a5705f, v4
	v_sub_f32_e32 v9, v9, v17
	v_add_f32_e32 v9, v9, v16
	v_exp_f32_e32 v9, v9
	v_cvt_i32_f32_e32 v16, v17
	v_cndmask_b32_e32 v7, 0, v7, vcc
	v_mov_b32_e32 v17, 0x7f800000
	v_cmp_nlt_f32_e32 vcc, s4, v5
	v_ldexp_f32 v5, v9, v16
	s_nop 0
	v_cndmask_b32_e32 v19, v17, v7, vcc
	v_cmp_ngt_f32_e32 vcc, s1, v4
	s_nop 1
	v_cndmask_b32_e32 v5, 0, v5, vcc
	v_cmp_nlt_f32_e32 vcc, s4, v4
	v_mov_b32_e32 v4, v19
	s_nop 0
	v_cndmask_b32_e32 v18, v17, v5, vcc
	v_pk_add_f32 v[16:17], v[18:19], v[4:5] op_sel_hi:[1,0]
	v_cmp_gt_u32_e32 vcc, s14, v6
	s_and_saveexec_b64 s[4:5], vcc
	s_cbranch_execz .LBB6_107
; %bb.58:
	v_mov_b32_e32 v9, 0
	v_lshlrev_b64 v[4:5], 4, v[8:9]
	v_lshl_add_u64 v[22:23], v[0:1], 0, v[4:5]
	v_lshl_add_u64 v[20:21], v[2:3], 0, v[4:5]
	global_load_dwordx4 v[0:3], v[22:23], off
	global_load_dwordx4 v[4:7], v[20:21], off
	v_div_scale_f32 v20, s[0:1], v16, v16, v19
	v_div_scale_f32 v22, s[0:1], v16, v16, v18
	v_rcp_f32_e32 v24, v20
	v_rcp_f32_e32 v25, v22
	v_div_scale_f32 v21, vcc, v19, v16, v19
	v_fma_f32 v26, -v20, v24, 1.0
	v_fma_f32 v27, -v22, v25, 1.0
	v_fmac_f32_e32 v24, v26, v24
	v_div_scale_f32 v23, s[0:1], v18, v16, v18
	v_fmac_f32_e32 v25, v27, v25
	v_mul_f32_e32 v26, v21, v24
	v_mul_f32_e32 v27, v23, v25
	v_fma_f32 v28, -v20, v26, v21
	v_fma_f32 v29, -v22, v27, v23
	v_fmac_f32_e32 v26, v28, v24
	v_fmac_f32_e32 v27, v29, v25
	v_fma_f32 v20, -v20, v26, v21
	v_fma_f32 v21, -v22, v27, v23
	v_div_fmas_f32 v20, v20, v24, v26
	s_mov_b64 vcc, s[0:1]
	v_div_fixup_f32 v19, v20, v16, v19
	v_div_fmas_f32 v20, v21, v25, v27
	v_div_fixup_f32 v18, v20, v16, v18
	s_mov_b32 s10, 0x43f00000
	v_mov_b32_e32 v17, 0x7f
	s_waitcnt vmcnt(1)
	v_lshlrev_b32_e32 v21, 16, v0
	s_waitcnt vmcnt(0)
	v_lshlrev_b32_e32 v20, 16, v4
	v_pk_mul_f32 v[20:21], v[18:19], v[20:21]
	s_nop 0
	v_add_f32_e32 v20, v20, v21
	v_mul_f32_e32 v20, v15, v20
	v_min_f32_e32 v20, 0x43e00000, v20
	v_max_f32_e32 v21, 0xc3e00000, v20
	v_and_b32_e32 v22, 0x7fffffff, v21
	v_cmp_gt_u32_e32 vcc, s10, v22
	v_mov_b32_e32 v20, 0x7f
	s_and_saveexec_b64 s[0:1], vcc
	s_cbranch_execz .LBB6_64
; %bb.59:
	s_mov_b32 s8, 0x3c7fffff
	v_cmp_lt_u32_e32 vcc, s8, v22
                                        ; implicit-def: $vgpr20
	s_and_saveexec_b64 s[8:9], vcc
	s_xor_b64 s[8:9], exec, s[8:9]
; %bb.60:
	v_bfe_u32 v20, v21, 20, 1
	s_mov_b32 s11, 0x407ffff
	v_add3_u32 v20, v21, v20, s11
	v_lshrrev_b32_e32 v20, 20, v20
; %bb.61:
	s_andn2_saveexec_b64 s[8:9], s[8:9]
; %bb.62:
	s_mov_b32 s11, 0x46800000
	v_add_f32_e64 v20, |v21|, s11
; %bb.63:
	s_or_b64 exec, exec, s[8:9]
.LBB6_64:
	s_or_b64 exec, exec, s[0:1]
	v_and_b32_e32 v0, 0xffff0000, v0
	v_and_b32_e32 v4, 0xffff0000, v4
	v_mul_f32_e32 v0, v19, v0
	v_fmac_f32_e32 v0, v18, v4
	v_mul_f32_e32 v0, v15, v0
	v_min_f32_e32 v0, 0x43e00000, v0
	v_max_f32_e32 v0, 0xc3e00000, v0
	v_and_b32_e32 v4, 0x7fffffff, v0
	v_cmp_gt_u32_e32 vcc, s10, v4
	s_and_saveexec_b64 s[0:1], vcc
	s_cbranch_execz .LBB6_70
; %bb.65:
	s_mov_b32 s8, 0x3c7fffff
	v_cmp_lt_u32_e32 vcc, s8, v4
                                        ; implicit-def: $vgpr17
	s_and_saveexec_b64 s[8:9], vcc
	s_xor_b64 s[8:9], exec, s[8:9]
; %bb.66:
	v_bfe_u32 v4, v0, 20, 1
	s_mov_b32 s10, 0x407ffff
	v_add3_u32 v4, v0, v4, s10
	v_lshrrev_b32_e32 v17, 20, v4
; %bb.67:
	s_andn2_saveexec_b64 s[8:9], s[8:9]
; %bb.68:
	s_mov_b32 s10, 0x46800000
	v_add_f32_e64 v17, |v0|, s10
; %bb.69:
	s_or_b64 exec, exec, s[8:9]
.LBB6_70:
	s_or_b64 exec, exec, s[0:1]
	v_lshlrev_b32_e32 v22, 16, v1
	v_lshlrev_b32_e32 v4, 16, v5
	v_mul_f32_e32 v22, v19, v22
	v_fmac_f32_e32 v22, v18, v4
	v_mul_f32_e32 v4, v15, v22
	v_min_f32_e32 v4, 0x43e00000, v4
	v_max_f32_e32 v23, 0xc3e00000, v4
	v_and_b32_e32 v24, 0x7fffffff, v23
	s_mov_b32 s10, 0x43f00000
	v_cmp_gt_u32_e32 vcc, s10, v24
	v_mov_b32_e32 v22, 0x7f
	v_mov_b32_e32 v4, 0x7f
	s_and_saveexec_b64 s[0:1], vcc
	s_cbranch_execz .LBB6_76
; %bb.71:
	s_mov_b32 s8, 0x3c7fffff
	v_cmp_lt_u32_e32 vcc, s8, v24
                                        ; implicit-def: $vgpr4
	s_and_saveexec_b64 s[8:9], vcc
	s_xor_b64 s[8:9], exec, s[8:9]
; %bb.72:
	v_bfe_u32 v4, v23, 20, 1
	s_mov_b32 s11, 0x407ffff
	v_add3_u32 v4, v23, v4, s11
	v_lshrrev_b32_e32 v4, 20, v4
; %bb.73:
	s_andn2_saveexec_b64 s[8:9], s[8:9]
; %bb.74:
	s_mov_b32 s11, 0x46800000
	v_add_f32_e64 v4, |v23|, s11
; %bb.75:
	s_or_b64 exec, exec, s[8:9]
.LBB6_76:
	s_or_b64 exec, exec, s[0:1]
	v_and_b32_e32 v1, 0xffff0000, v1
	v_and_b32_e32 v5, 0xffff0000, v5
	v_mul_f32_e32 v1, v19, v1
	v_fmac_f32_e32 v1, v18, v5
	v_mul_f32_e32 v1, v15, v1
	v_min_f32_e32 v1, 0x43e00000, v1
	v_max_f32_e32 v1, 0xc3e00000, v1
	v_and_b32_e32 v5, 0x7fffffff, v1
	v_cmp_gt_u32_e32 vcc, s10, v5
	s_and_saveexec_b64 s[0:1], vcc
	s_cbranch_execz .LBB6_82
; %bb.77:
	s_mov_b32 s8, 0x3c7fffff
	v_cmp_lt_u32_e32 vcc, s8, v5
                                        ; implicit-def: $vgpr22
	s_and_saveexec_b64 s[8:9], vcc
	s_xor_b64 s[8:9], exec, s[8:9]
; %bb.78:
	v_bfe_u32 v5, v1, 20, 1
	s_mov_b32 s10, 0x407ffff
	v_add3_u32 v5, v1, v5, s10
	v_lshrrev_b32_e32 v22, 20, v5
; %bb.79:
	s_andn2_saveexec_b64 s[8:9], s[8:9]
; %bb.80:
	s_mov_b32 s10, 0x46800000
	v_add_f32_e64 v22, |v1|, s10
; %bb.81:
	s_or_b64 exec, exec, s[8:9]
.LBB6_82:
	s_or_b64 exec, exec, s[0:1]
	v_lshlrev_b32_e32 v24, 16, v2
	v_lshlrev_b32_e32 v5, 16, v6
	v_mul_f32_e32 v24, v19, v24
	v_fmac_f32_e32 v24, v18, v5
	v_mul_f32_e32 v5, v15, v24
	v_min_f32_e32 v5, 0x43e00000, v5
	v_max_f32_e32 v5, 0xc3e00000, v5
	v_and_b32_e32 v26, 0x7fffffff, v5
	s_mov_b32 s10, 0x43f00000
	v_cmp_gt_u32_e32 vcc, s10, v26
	v_mov_b32_e32 v25, 0x7f
	v_mov_b32_e32 v24, 0x7f
	s_and_saveexec_b64 s[0:1], vcc
	s_cbranch_execz .LBB6_88
; %bb.83:
	s_mov_b32 s8, 0x3c7fffff
	v_cmp_lt_u32_e32 vcc, s8, v26
                                        ; implicit-def: $vgpr24
	s_and_saveexec_b64 s[8:9], vcc
	s_xor_b64 s[8:9], exec, s[8:9]
; %bb.84:
	v_bfe_u32 v24, v5, 20, 1
	s_mov_b32 s11, 0x407ffff
	v_add3_u32 v24, v5, v24, s11
	v_lshrrev_b32_e32 v24, 20, v24
; %bb.85:
	s_andn2_saveexec_b64 s[8:9], s[8:9]
; %bb.86:
	s_mov_b32 s11, 0x46800000
	v_add_f32_e64 v24, |v5|, s11
; %bb.87:
	s_or_b64 exec, exec, s[8:9]
.LBB6_88:
	s_or_b64 exec, exec, s[0:1]
	v_and_b32_e32 v2, 0xffff0000, v2
	v_and_b32_e32 v6, 0xffff0000, v6
	v_mul_f32_e32 v2, v19, v2
	v_fmac_f32_e32 v2, v18, v6
	v_mul_f32_e32 v2, v15, v2
	v_min_f32_e32 v2, 0x43e00000, v2
	v_max_f32_e32 v2, 0xc3e00000, v2
	v_and_b32_e32 v6, 0x7fffffff, v2
	v_cmp_gt_u32_e32 vcc, s10, v6
	s_and_saveexec_b64 s[0:1], vcc
	s_cbranch_execz .LBB6_94
; %bb.89:
	s_mov_b32 s8, 0x3c7fffff
	v_cmp_lt_u32_e32 vcc, s8, v6
                                        ; implicit-def: $vgpr25
	s_and_saveexec_b64 s[8:9], vcc
	s_xor_b64 s[8:9], exec, s[8:9]
; %bb.90:
	v_bfe_u32 v6, v2, 20, 1
	s_mov_b32 s10, 0x407ffff
	v_add3_u32 v6, v2, v6, s10
	v_lshrrev_b32_e32 v25, 20, v6
; %bb.91:
	s_andn2_saveexec_b64 s[8:9], s[8:9]
; %bb.92:
	s_mov_b32 s10, 0x46800000
	v_add_f32_e64 v25, |v2|, s10
; %bb.93:
	s_or_b64 exec, exec, s[8:9]
.LBB6_94:
	s_or_b64 exec, exec, s[0:1]
	v_lshlrev_b32_e32 v26, 16, v3
	v_lshlrev_b32_e32 v6, 16, v7
	v_mul_f32_e32 v26, v19, v26
	v_fmac_f32_e32 v26, v18, v6
	v_mul_f32_e32 v6, v15, v26
	v_min_f32_e32 v6, 0x43e00000, v6
	v_max_f32_e32 v6, 0xc3e00000, v6
	v_and_b32_e32 v28, 0x7fffffff, v6
	s_mov_b32 s10, 0x43f00000
	v_cmp_gt_u32_e32 vcc, s10, v28
	v_mov_b32_e32 v27, 0x7f
	v_mov_b32_e32 v26, 0x7f
	s_and_saveexec_b64 s[0:1], vcc
	s_cbranch_execz .LBB6_100
; %bb.95:
	s_mov_b32 s8, 0x3c7fffff
	v_cmp_lt_u32_e32 vcc, s8, v28
                                        ; implicit-def: $vgpr26
	s_and_saveexec_b64 s[8:9], vcc
	s_xor_b64 s[8:9], exec, s[8:9]
; %bb.96:
	v_bfe_u32 v26, v6, 20, 1
	s_mov_b32 s11, 0x407ffff
	v_add3_u32 v26, v6, v26, s11
	v_lshrrev_b32_e32 v26, 20, v26
; %bb.97:
	s_andn2_saveexec_b64 s[8:9], s[8:9]
; %bb.98:
	s_mov_b32 s11, 0x46800000
	v_add_f32_e64 v26, |v6|, s11
; %bb.99:
	s_or_b64 exec, exec, s[8:9]
.LBB6_100:
	s_or_b64 exec, exec, s[0:1]
	v_and_b32_e32 v3, 0xffff0000, v3
	v_and_b32_e32 v7, 0xffff0000, v7
	v_mul_f32_e32 v3, v19, v3
	v_fmac_f32_e32 v3, v18, v7
	v_mul_f32_e32 v3, v15, v3
	v_min_f32_e32 v3, 0x43e00000, v3
	v_max_f32_e32 v3, 0xc3e00000, v3
	v_and_b32_e32 v7, 0x7fffffff, v3
	v_cmp_gt_u32_e32 vcc, s10, v7
	s_and_saveexec_b64 s[0:1], vcc
	s_cbranch_execz .LBB6_106
; %bb.101:
	s_mov_b32 s8, 0x3c7fffff
	v_cmp_lt_u32_e32 vcc, s8, v7
                                        ; implicit-def: $vgpr27
	s_and_saveexec_b64 s[8:9], vcc
	s_xor_b64 s[8:9], exec, s[8:9]
; %bb.102:
	v_bfe_u32 v7, v3, 20, 1
	s_mov_b32 s10, 0x407ffff
	v_add3_u32 v7, v3, v7, s10
	v_lshrrev_b32_e32 v27, 20, v7
; %bb.103:
	s_andn2_saveexec_b64 s[8:9], s[8:9]
; %bb.104:
	s_mov_b32 s10, 0x46800000
	v_add_f32_e64 v27, |v3|, s10
; %bb.105:
	s_or_b64 exec, exec, s[8:9]
.LBB6_106:
	s_or_b64 exec, exec, s[0:1]
	s_movk_i32 s0, 0x80
	v_lshrrev_b32_e32 v19, 24, v3
	v_and_b32_sdwa v6, v6, s0 dst_sel:DWORD dst_unused:UNUSED_PAD src0_sel:BYTE_3 src1_sel:DWORD
	v_and_b32_sdwa v7, v2, s0 dst_sel:DWORD dst_unused:UNUSED_PAD src0_sel:BYTE_3 src1_sel:DWORD
	;; [unrolled: 1-line block ×6, first 2 shown]
	v_lshl_add_u64 v[2:3], v[8:9], 3, v[10:11]
	v_and_or_b32 v9, v19, s0, v27
	s_movk_i32 s0, 0xff
	v_and_or_b32 v6, v26, s0, v6
	v_lshlrev_b32_e32 v9, 24, v9
	v_lshlrev_b32_e32 v6, 16, v6
	v_and_or_b32 v7, v25, s0, v7
	v_or_b32_e32 v6, v9, v6
	v_lshlrev_b32_e32 v7, 8, v7
	v_and_or_b32 v5, v24, s0, v5
	v_and_or_b32 v4, v4, s0, v15
	v_or3_b32 v5, v6, v7, v5
	v_lshlrev_b32_e32 v6, 24, v22
	v_and_b32_e32 v1, 0x80000000, v1
	v_lshlrev_b32_e32 v4, 16, v4
	v_and_or_b32 v0, v17, s0, v0
	v_lshlrev_b32_e32 v0, 8, v0
	v_or3_b32 v1, v1, v6, v4
	v_and_or_b32 v4, v20, s0, v18
	v_or3_b32 v4, v1, v0, v4
	global_store_dwordx2 v[2:3], v[4:5], off
.LBB6_107:
	s_or_b64 exec, exec, s[4:5]
	s_cmp_lg_u64 s[6:7], 0
	s_cselect_b64 s[0:1], -1, 0
	v_cmp_eq_u32_e32 vcc, 0, v8
	s_and_b64 s[0:1], s[0:1], vcc
	s_and_saveexec_b64 s[4:5], s[0:1]
	s_cbranch_execz .LBB6_109
; %bb.108:
	s_mov_b32 s0, 0x800000
	v_mov_b32_e32 v0, 0x4f800000
	v_cmp_gt_f32_e32 vcc, s0, v16
	s_mov_b32 s0, 0x3f317217
	s_nop 0
	v_cndmask_b32_e32 v0, 1.0, v0, vcc
	v_mul_f32_e32 v0, v16, v0
	v_log_f32_e32 v2, v0
	v_lshl_add_u64 v[0:1], v[12:13], 2, s[6:7]
	v_mul_f32_e32 v3, 0x3f317217, v2
	v_fma_f32 v4, v2, s0, -v3
	v_fmamk_f32 v4, v2, 0x3377d1cf, v4
	s_mov_b32 s0, 0x7f800000
	v_add_f32_e32 v3, v3, v4
	v_cmp_lt_f32_e64 s[0:1], |v2|, s0
	s_nop 1
	v_cndmask_b32_e64 v2, v2, v3, s[0:1]
	v_mov_b32_e32 v3, 0x41b17218
	v_cndmask_b32_e32 v3, 0, v3, vcc
	v_sub_f32_e32 v2, v2, v3
	v_add_f32_e32 v2, v14, v2
	global_store_dword v[0:1], v2, off
.LBB6_109:
	s_or_b64 exec, exec, s[4:5]
                                        ; implicit-def: $vgpr8
                                        ; implicit-def: $vgpr12_vgpr13
                                        ; implicit-def: $vgpr14
                                        ; implicit-def: $vgpr6
                                        ; implicit-def: $vgpr10_vgpr11
                                        ; implicit-def: $vgpr15
                                        ; implicit-def: $vgpr2_vgpr3
.LBB6_110:
	s_andn2_saveexec_b64 s[0:1], s[2:3]
	s_cbranch_execz .LBB6_163
; %bb.111:
	v_cmp_gt_u32_e32 vcc, s14, v6
	s_and_saveexec_b64 s[0:1], vcc
	s_cbranch_execz .LBB6_161
; %bb.112:
	v_mov_b32_e32 v9, 0
	v_lshl_add_u64 v[0:1], v[8:9], 4, v[2:3]
	global_load_dwordx4 v[0:3], v[0:1], off
	s_mov_b32 s8, 0x43f00000
	v_mov_b32_e32 v4, 0x7f
	s_waitcnt vmcnt(0)
	v_lshlrev_b32_e32 v5, 16, v0
	v_mul_f32_e32 v5, v15, v5
	v_min_f32_e32 v5, 0x43e00000, v5
	v_max_f32_e32 v6, 0xc3e00000, v5
	v_and_b32_e32 v7, 0x7fffffff, v6
	v_cmp_gt_u32_e32 vcc, s8, v7
	v_mov_b32_e32 v5, 0x7f
	s_and_saveexec_b64 s[2:3], vcc
	s_cbranch_execz .LBB6_118
; %bb.113:
	s_mov_b32 s4, 0x3c7fffff
	v_cmp_lt_u32_e32 vcc, s4, v7
                                        ; implicit-def: $vgpr5
	s_and_saveexec_b64 s[4:5], vcc
	s_xor_b64 s[4:5], exec, s[4:5]
; %bb.114:
	v_bfe_u32 v5, v6, 20, 1
	s_mov_b32 s9, 0x407ffff
	v_add3_u32 v5, v6, v5, s9
	v_lshrrev_b32_e32 v5, 20, v5
; %bb.115:
	s_andn2_saveexec_b64 s[4:5], s[4:5]
; %bb.116:
	s_mov_b32 s9, 0x46800000
	v_add_f32_e64 v5, |v6|, s9
; %bb.117:
	s_or_b64 exec, exec, s[4:5]
.LBB6_118:
	s_or_b64 exec, exec, s[2:3]
	v_and_b32_e32 v0, 0xffff0000, v0
	v_mul_f32_e32 v0, v15, v0
	v_min_f32_e32 v0, 0x43e00000, v0
	v_max_f32_e32 v0, 0xc3e00000, v0
	v_and_b32_e32 v7, 0x7fffffff, v0
	v_cmp_gt_u32_e32 vcc, s8, v7
	s_and_saveexec_b64 s[2:3], vcc
	s_cbranch_execz .LBB6_124
; %bb.119:
	s_mov_b32 s4, 0x3c7fffff
	v_cmp_lt_u32_e32 vcc, s4, v7
                                        ; implicit-def: $vgpr4
	s_and_saveexec_b64 s[4:5], vcc
	s_xor_b64 s[4:5], exec, s[4:5]
; %bb.120:
	v_bfe_u32 v4, v0, 20, 1
	s_mov_b32 s8, 0x407ffff
	v_add3_u32 v4, v0, v4, s8
	v_lshrrev_b32_e32 v4, 20, v4
; %bb.121:
	s_andn2_saveexec_b64 s[4:5], s[4:5]
; %bb.122:
	s_mov_b32 s8, 0x46800000
	v_add_f32_e64 v4, |v0|, s8
; %bb.123:
	s_or_b64 exec, exec, s[4:5]
.LBB6_124:
	s_or_b64 exec, exec, s[2:3]
	v_lshlrev_b32_e32 v7, 16, v1
	v_mul_f32_e32 v7, v15, v7
	v_min_f32_e32 v7, 0x43e00000, v7
	v_max_f32_e32 v17, 0xc3e00000, v7
	v_and_b32_e32 v18, 0x7fffffff, v17
	s_mov_b32 s8, 0x43f00000
	v_cmp_gt_u32_e32 vcc, s8, v18
	v_mov_b32_e32 v16, 0x7f
	v_mov_b32_e32 v7, 0x7f
	s_and_saveexec_b64 s[2:3], vcc
	s_cbranch_execz .LBB6_130
; %bb.125:
	s_mov_b32 s4, 0x3c7fffff
	v_cmp_lt_u32_e32 vcc, s4, v18
                                        ; implicit-def: $vgpr7
	s_and_saveexec_b64 s[4:5], vcc
	s_xor_b64 s[4:5], exec, s[4:5]
; %bb.126:
	v_bfe_u32 v7, v17, 20, 1
	s_mov_b32 s9, 0x407ffff
	v_add3_u32 v7, v17, v7, s9
	v_lshrrev_b32_e32 v7, 20, v7
; %bb.127:
	s_andn2_saveexec_b64 s[4:5], s[4:5]
; %bb.128:
	s_mov_b32 s9, 0x46800000
	v_add_f32_e64 v7, |v17|, s9
; %bb.129:
	s_or_b64 exec, exec, s[4:5]
.LBB6_130:
	s_or_b64 exec, exec, s[2:3]
	v_and_b32_e32 v1, 0xffff0000, v1
	v_mul_f32_e32 v1, v15, v1
	v_min_f32_e32 v1, 0x43e00000, v1
	v_max_f32_e32 v1, 0xc3e00000, v1
	v_and_b32_e32 v18, 0x7fffffff, v1
	v_cmp_gt_u32_e32 vcc, s8, v18
	s_and_saveexec_b64 s[2:3], vcc
	s_cbranch_execz .LBB6_136
; %bb.131:
	s_mov_b32 s4, 0x3c7fffff
	v_cmp_lt_u32_e32 vcc, s4, v18
                                        ; implicit-def: $vgpr16
	s_and_saveexec_b64 s[4:5], vcc
	s_xor_b64 s[4:5], exec, s[4:5]
; %bb.132:
	v_bfe_u32 v16, v1, 20, 1
	s_mov_b32 s8, 0x407ffff
	v_add3_u32 v16, v1, v16, s8
	v_lshrrev_b32_e32 v16, 20, v16
; %bb.133:
	s_andn2_saveexec_b64 s[4:5], s[4:5]
; %bb.134:
	s_mov_b32 s8, 0x46800000
	v_add_f32_e64 v16, |v1|, s8
; %bb.135:
	s_or_b64 exec, exec, s[4:5]
.LBB6_136:
	s_or_b64 exec, exec, s[2:3]
	v_lshlrev_b32_e32 v18, 16, v2
	v_mul_f32_e32 v18, v15, v18
	v_min_f32_e32 v18, 0x43e00000, v18
	v_max_f32_e32 v18, 0xc3e00000, v18
	v_and_b32_e32 v21, 0x7fffffff, v18
	s_mov_b32 s8, 0x43f00000
	v_cmp_gt_u32_e32 vcc, s8, v21
	v_mov_b32_e32 v20, 0x7f
	v_mov_b32_e32 v19, 0x7f
	s_and_saveexec_b64 s[2:3], vcc
	s_cbranch_execz .LBB6_142
; %bb.137:
	s_mov_b32 s4, 0x3c7fffff
	v_cmp_lt_u32_e32 vcc, s4, v21
                                        ; implicit-def: $vgpr19
	s_and_saveexec_b64 s[4:5], vcc
	s_xor_b64 s[4:5], exec, s[4:5]
; %bb.138:
	v_bfe_u32 v19, v18, 20, 1
	s_mov_b32 s9, 0x407ffff
	v_add3_u32 v19, v18, v19, s9
	v_lshrrev_b32_e32 v19, 20, v19
; %bb.139:
	s_andn2_saveexec_b64 s[4:5], s[4:5]
; %bb.140:
	s_mov_b32 s9, 0x46800000
	v_add_f32_e64 v19, |v18|, s9
; %bb.141:
	s_or_b64 exec, exec, s[4:5]
.LBB6_142:
	s_or_b64 exec, exec, s[2:3]
	v_and_b32_e32 v2, 0xffff0000, v2
	v_mul_f32_e32 v2, v15, v2
	v_min_f32_e32 v2, 0x43e00000, v2
	v_max_f32_e32 v2, 0xc3e00000, v2
	v_and_b32_e32 v21, 0x7fffffff, v2
	v_cmp_gt_u32_e32 vcc, s8, v21
	s_and_saveexec_b64 s[2:3], vcc
	s_cbranch_execz .LBB6_148
; %bb.143:
	s_mov_b32 s4, 0x3c7fffff
	v_cmp_lt_u32_e32 vcc, s4, v21
                                        ; implicit-def: $vgpr20
	s_and_saveexec_b64 s[4:5], vcc
	s_xor_b64 s[4:5], exec, s[4:5]
; %bb.144:
	v_bfe_u32 v20, v2, 20, 1
	s_mov_b32 s8, 0x407ffff
	v_add3_u32 v20, v2, v20, s8
	v_lshrrev_b32_e32 v20, 20, v20
; %bb.145:
	s_andn2_saveexec_b64 s[4:5], s[4:5]
; %bb.146:
	s_mov_b32 s8, 0x46800000
	v_add_f32_e64 v20, |v2|, s8
; %bb.147:
	s_or_b64 exec, exec, s[4:5]
.LBB6_148:
	s_or_b64 exec, exec, s[2:3]
	v_lshlrev_b32_e32 v21, 16, v3
	v_mul_f32_e32 v21, v15, v21
	v_min_f32_e32 v21, 0x43e00000, v21
	v_max_f32_e32 v21, 0xc3e00000, v21
	v_and_b32_e32 v24, 0x7fffffff, v21
	s_mov_b32 s8, 0x43f00000
	v_cmp_gt_u32_e32 vcc, s8, v24
	v_mov_b32_e32 v23, 0x7f
	v_mov_b32_e32 v22, 0x7f
	s_and_saveexec_b64 s[2:3], vcc
	s_cbranch_execz .LBB6_154
; %bb.149:
	s_mov_b32 s4, 0x3c7fffff
	v_cmp_lt_u32_e32 vcc, s4, v24
                                        ; implicit-def: $vgpr22
	s_and_saveexec_b64 s[4:5], vcc
	s_xor_b64 s[4:5], exec, s[4:5]
; %bb.150:
	v_bfe_u32 v22, v21, 20, 1
	s_mov_b32 s9, 0x407ffff
	v_add3_u32 v22, v21, v22, s9
	v_lshrrev_b32_e32 v22, 20, v22
; %bb.151:
	s_andn2_saveexec_b64 s[4:5], s[4:5]
; %bb.152:
	s_mov_b32 s9, 0x46800000
	v_add_f32_e64 v22, |v21|, s9
; %bb.153:
	s_or_b64 exec, exec, s[4:5]
.LBB6_154:
	s_or_b64 exec, exec, s[2:3]
	v_and_b32_e32 v3, 0xffff0000, v3
	v_mul_f32_e32 v3, v15, v3
	v_min_f32_e32 v3, 0x43e00000, v3
	v_max_f32_e32 v3, 0xc3e00000, v3
	v_and_b32_e32 v15, 0x7fffffff, v3
	v_cmp_gt_u32_e32 vcc, s8, v15
	s_and_saveexec_b64 s[2:3], vcc
	s_cbranch_execz .LBB6_160
; %bb.155:
	s_mov_b32 s4, 0x3c7fffff
	v_cmp_lt_u32_e32 vcc, s4, v15
                                        ; implicit-def: $vgpr23
	s_and_saveexec_b64 s[4:5], vcc
	s_xor_b64 s[4:5], exec, s[4:5]
; %bb.156:
	v_bfe_u32 v15, v3, 20, 1
	s_mov_b32 s8, 0x407ffff
	v_add3_u32 v15, v3, v15, s8
	v_lshrrev_b32_e32 v23, 20, v15
; %bb.157:
	s_andn2_saveexec_b64 s[4:5], s[4:5]
; %bb.158:
	s_mov_b32 s8, 0x46800000
	v_add_f32_e64 v23, |v3|, s8
; %bb.159:
	s_or_b64 exec, exec, s[4:5]
.LBB6_160:
	s_or_b64 exec, exec, s[2:3]
	s_movk_i32 s2, 0x80
	v_lshrrev_b32_e32 v24, 24, v3
	v_and_b32_sdwa v15, v21, s2 dst_sel:DWORD dst_unused:UNUSED_PAD src0_sel:BYTE_3 src1_sel:DWORD
	v_and_b32_sdwa v21, v2, s2 dst_sel:DWORD dst_unused:UNUSED_PAD src0_sel:BYTE_3 src1_sel:DWORD
	;; [unrolled: 1-line block ×6, first 2 shown]
	v_lshl_add_u64 v[2:3], v[8:9], 3, v[10:11]
	v_and_or_b32 v9, v24, s2, v23
	s_movk_i32 s2, 0xff
	v_and_or_b32 v10, v22, s2, v15
	v_lshlrev_b32_e32 v9, 24, v9
	v_lshlrev_b32_e32 v10, 16, v10
	v_or_b32_e32 v9, v9, v10
	v_and_or_b32 v10, v20, s2, v21
	v_lshlrev_b32_e32 v10, 8, v10
	v_and_or_b32 v11, v19, s2, v18
	v_and_or_b32 v7, v7, s2, v17
	v_or3_b32 v11, v9, v10, v11
	v_lshlrev_b32_e32 v9, 24, v16
	v_and_b32_e32 v1, 0x80000000, v1
	v_lshlrev_b32_e32 v7, 16, v7
	v_and_or_b32 v0, v4, s2, v0
	v_lshlrev_b32_e32 v0, 8, v0
	v_or3_b32 v1, v1, v9, v7
	v_and_or_b32 v4, v5, s2, v6
	v_or3_b32 v10, v1, v0, v4
	global_store_dwordx2 v[2:3], v[10:11], off
.LBB6_161:
	s_or_b64 exec, exec, s[0:1]
	s_cmp_lg_u64 s[6:7], 0
	s_cselect_b64 s[0:1], -1, 0
	v_cmp_eq_u32_e32 vcc, 0, v8
	s_and_b64 s[0:1], s[0:1], vcc
	s_and_saveexec_b64 s[2:3], s[0:1]
	s_cbranch_execz .LBB6_163
; %bb.162:
	v_lshl_add_u64 v[0:1], v[12:13], 2, s[6:7]
	global_store_dword v[0:1], v14, off
.LBB6_163:
	s_endpgm
	.section	.rodata,"a",@progbits
	.p2align	6, 0x0
	.amdhsa_kernel _ZN4vllm24merge_attn_states_kernelI14__hip_bfloat16N3c1013Float8_e4m3fnELj128ELb1EEEvPT0_PfPKT_PKfS9_SB_jjjjjjSB_
		.amdhsa_group_segment_fixed_size 0
		.amdhsa_private_segment_fixed_size 0
		.amdhsa_kernarg_size 80
		.amdhsa_user_sgpr_count 2
		.amdhsa_user_sgpr_dispatch_ptr 0
		.amdhsa_user_sgpr_queue_ptr 0
		.amdhsa_user_sgpr_kernarg_segment_ptr 1
		.amdhsa_user_sgpr_dispatch_id 0
		.amdhsa_user_sgpr_kernarg_preload_length 0
		.amdhsa_user_sgpr_kernarg_preload_offset 0
		.amdhsa_user_sgpr_private_segment_size 0
		.amdhsa_uses_dynamic_stack 0
		.amdhsa_enable_private_segment 0
		.amdhsa_system_sgpr_workgroup_id_x 1
		.amdhsa_system_sgpr_workgroup_id_y 0
		.amdhsa_system_sgpr_workgroup_id_z 0
		.amdhsa_system_sgpr_workgroup_info 0
		.amdhsa_system_vgpr_workitem_id 0
		.amdhsa_next_free_vgpr 30
		.amdhsa_next_free_sgpr 24
		.amdhsa_accum_offset 32
		.amdhsa_reserve_vcc 1
		.amdhsa_float_round_mode_32 0
		.amdhsa_float_round_mode_16_64 0
		.amdhsa_float_denorm_mode_32 3
		.amdhsa_float_denorm_mode_16_64 3
		.amdhsa_dx10_clamp 1
		.amdhsa_ieee_mode 1
		.amdhsa_fp16_overflow 0
		.amdhsa_tg_split 0
		.amdhsa_exception_fp_ieee_invalid_op 0
		.amdhsa_exception_fp_denorm_src 0
		.amdhsa_exception_fp_ieee_div_zero 0
		.amdhsa_exception_fp_ieee_overflow 0
		.amdhsa_exception_fp_ieee_underflow 0
		.amdhsa_exception_fp_ieee_inexact 0
		.amdhsa_exception_int_div_zero 0
	.end_amdhsa_kernel
	.section	.text._ZN4vllm24merge_attn_states_kernelI14__hip_bfloat16N3c1013Float8_e4m3fnELj128ELb1EEEvPT0_PfPKT_PKfS9_SB_jjjjjjSB_,"axG",@progbits,_ZN4vllm24merge_attn_states_kernelI14__hip_bfloat16N3c1013Float8_e4m3fnELj128ELb1EEEvPT0_PfPKT_PKfS9_SB_jjjjjjSB_,comdat
.Lfunc_end6:
	.size	_ZN4vllm24merge_attn_states_kernelI14__hip_bfloat16N3c1013Float8_e4m3fnELj128ELb1EEEvPT0_PfPKT_PKfS9_SB_jjjjjjSB_, .Lfunc_end6-_ZN4vllm24merge_attn_states_kernelI14__hip_bfloat16N3c1013Float8_e4m3fnELj128ELb1EEEvPT0_PfPKT_PKfS9_SB_jjjjjjSB_
                                        ; -- End function
	.section	.AMDGPU.csdata,"",@progbits
; Kernel info:
; codeLenInByte = 5316
; NumSgprs: 30
; NumVgprs: 30
; NumAgprs: 0
; TotalNumVgprs: 30
; ScratchSize: 0
; MemoryBound: 0
; FloatMode: 240
; IeeeMode: 1
; LDSByteSize: 0 bytes/workgroup (compile time only)
; SGPRBlocks: 3
; VGPRBlocks: 3
; NumSGPRsForWavesPerEU: 30
; NumVGPRsForWavesPerEU: 30
; AccumOffset: 32
; Occupancy: 8
; WaveLimiterHint : 0
; COMPUTE_PGM_RSRC2:SCRATCH_EN: 0
; COMPUTE_PGM_RSRC2:USER_SGPR: 2
; COMPUTE_PGM_RSRC2:TRAP_HANDLER: 0
; COMPUTE_PGM_RSRC2:TGID_X_EN: 1
; COMPUTE_PGM_RSRC2:TGID_Y_EN: 0
; COMPUTE_PGM_RSRC2:TGID_Z_EN: 0
; COMPUTE_PGM_RSRC2:TIDIG_COMP_CNT: 0
; COMPUTE_PGM_RSRC3_GFX90A:ACCUM_OFFSET: 7
; COMPUTE_PGM_RSRC3_GFX90A:TG_SPLIT: 0
	.section	.text._ZN4vllm24merge_attn_states_kernelI14__hip_bfloat16N3c1015Float8_e4m3fnuzELj128ELb1EEEvPT0_PfPKT_PKfS9_SB_jjjjjjSB_,"axG",@progbits,_ZN4vllm24merge_attn_states_kernelI14__hip_bfloat16N3c1015Float8_e4m3fnuzELj128ELb1EEEvPT0_PfPKT_PKfS9_SB_jjjjjjSB_,comdat
	.protected	_ZN4vllm24merge_attn_states_kernelI14__hip_bfloat16N3c1015Float8_e4m3fnuzELj128ELb1EEEvPT0_PfPKT_PKfS9_SB_jjjjjjSB_ ; -- Begin function _ZN4vllm24merge_attn_states_kernelI14__hip_bfloat16N3c1015Float8_e4m3fnuzELj128ELb1EEEvPT0_PfPKT_PKfS9_SB_jjjjjjSB_
	.globl	_ZN4vllm24merge_attn_states_kernelI14__hip_bfloat16N3c1015Float8_e4m3fnuzELj128ELb1EEEvPT0_PfPKT_PKfS9_SB_jjjjjjSB_
	.p2align	8
	.type	_ZN4vllm24merge_attn_states_kernelI14__hip_bfloat16N3c1015Float8_e4m3fnuzELj128ELb1EEEvPT0_PfPKT_PKfS9_SB_jjjjjjSB_,@function
_ZN4vllm24merge_attn_states_kernelI14__hip_bfloat16N3c1015Float8_e4m3fnuzELj128ELb1EEEvPT0_PfPKT_PKfS9_SB_jjjjjjSB_: ; @_ZN4vllm24merge_attn_states_kernelI14__hip_bfloat16N3c1015Float8_e4m3fnuzELj128ELb1EEEvPT0_PfPKT_PKfS9_SB_jjjjjjSB_
; %bb.0:
	s_load_dwordx4 s[12:15], s[0:1], 0x30
	v_lshl_add_u32 v0, s2, 7, v0
	s_waitcnt lgkmcnt(0)
	s_lshr_b32 s2, s14, 3
	s_mul_i32 s3, s13, s12
	s_mul_i32 s3, s3, s2
	v_cmp_gt_u32_e32 vcc, s3, v0
	s_and_saveexec_b64 s[4:5], vcc
	s_cbranch_execz .LBB7_19
; %bb.1:
	v_cvt_f32_u32_e32 v1, s2
	s_load_dwordx8 s[4:11], s[0:1], 0x0
	s_load_dwordx4 s[20:23], s[0:1], 0x40
	s_load_dwordx4 s[16:19], s[0:1], 0x20
	s_sub_i32 s0, 0, s2
	v_rcp_iflag_f32_e32 v1, v1
	v_cvt_f32_u32_e32 v4, s13
	s_waitcnt lgkmcnt(0)
	v_mov_b32_e32 v2, s16
	v_mul_f32_e32 v1, 0x4f7ffffe, v1
	v_cvt_u32_f32_e32 v1, v1
	v_rcp_iflag_f32_e32 v4, v4
	v_mov_b32_e32 v3, s17
	v_mul_lo_u32 v5, s0, v1
	v_mul_hi_u32 v5, v1, v5
	v_add_u32_e32 v1, v1, v5
	v_mul_hi_u32 v1, v0, v1
	v_mul_lo_u32 v5, v1, s2
	v_sub_u32_e32 v5, v0, v5
	v_add_u32_e32 v6, 1, v1
	v_cmp_le_u32_e32 vcc, s2, v5
	s_sub_i32 s0, 0, s13
	s_nop 0
	v_cndmask_b32_e32 v1, v1, v6, vcc
	v_subrev_u32_e32 v6, s2, v5
	v_cndmask_b32_e32 v5, v5, v6, vcc
	v_add_u32_e32 v6, 1, v1
	v_cmp_le_u32_e32 vcc, s2, v5
	s_nop 1
	v_cndmask_b32_e32 v7, v1, v6, vcc
	v_mul_f32_e32 v1, 0x4f7ffffe, v4
	v_cvt_u32_f32_e32 v1, v1
	v_mul_lo_u32 v4, v7, s2
	v_sub_u32_e32 v0, v0, v4
	s_load_dword s2, s[22:23], 0x0
	v_mul_lo_u32 v4, s0, v1
	v_mul_hi_u32 v4, v1, v4
	v_add_u32_e32 v1, v1, v4
	v_mul_hi_u32 v1, v7, v1
	v_mul_lo_u32 v4, v1, s13
	v_sub_u32_e32 v4, v7, v4
	v_add_u32_e32 v5, 1, v1
	v_cmp_le_u32_e32 vcc, s13, v4
	s_waitcnt lgkmcnt(0)
	v_div_scale_f32 v12, s[0:1], s2, s2, 1.0
	v_cndmask_b32_e32 v1, v1, v5, vcc
	v_subrev_u32_e32 v5, s13, v4
	v_cndmask_b32_e32 v4, v4, v5, vcc
	v_add_u32_e32 v5, 1, v1
	v_cmp_le_u32_e32 vcc, s13, v4
	v_rcp_f32_e32 v13, v12
	v_mul_lo_u32 v6, v7, s15
	v_cndmask_b32_e32 v4, v1, v5, vcc
	v_mul_lo_u32 v1, v4, s13
	v_sub_u32_e32 v5, v7, v1
	v_mul_lo_u32 v8, v7, s20
	v_mov_b32_e32 v7, 0
	v_mov_b32_e32 v9, v7
	v_lshl_add_u64 v[10:11], v[6:7], 1, v[2:3]
	v_lshl_add_u64 v[2:3], s[4:5], 0, v[8:9]
	v_fma_f32 v8, -v12, v13, 1.0
	v_fmac_f32_e32 v13, v8, v13
	v_div_scale_f32 v8, vcc, 1.0, s2, 1.0
	v_mul_f32_e32 v9, v8, v13
	v_fma_f32 v14, -v12, v9, v8
	v_fmac_f32_e32 v9, v14, v13
	v_fma_f32 v8, -v12, v9, v8
	v_div_fmas_f32 v8, v8, v13, v9
	v_lshlrev_b32_e32 v1, 3, v0
	v_div_fixup_f32 v16, v8, s2, 1.0
	v_cmp_le_u32_e32 vcc, s21, v4
	s_and_saveexec_b64 s[0:1], vcc
	s_xor_b64 s[0:1], exec, s[0:1]
	s_cbranch_execz .LBB7_7
; %bb.2:
	v_cmp_gt_u32_e32 vcc, s14, v1
	s_and_saveexec_b64 s[2:3], vcc
	s_cbranch_execz .LBB7_4
; %bb.3:
	v_mov_b32_e32 v1, 0
	v_lshl_add_u64 v[6:7], v[0:1], 4, v[10:11]
	global_load_dwordx4 v[6:9], v[6:7], off
	v_mov_b32_e32 v12, v1
	v_mov_b32_e32 v13, v1
	;; [unrolled: 1-line block ×8, first 2 shown]
	v_lshl_add_u64 v[2:3], v[0:1], 3, v[2:3]
	s_mov_b32 s4, 0x7f800000
	s_mov_b32 s5, 0x43700000
	v_mov_b32_e32 v10, 0xc3700000
	v_mov_b32_e32 v11, 8
	s_mov_b32 s13, 0x4020c0c
	s_waitcnt vmcnt(0)
	v_lshlrev_b32_e32 v1, 16, v6
	v_and_b32_e32 v6, 0xffff0000, v6
	v_mul_f32_e32 v1, v16, v1
	v_lshlrev_b32_e32 v21, 16, v7
	v_lshlrev_b32_e32 v22, 16, v8
	v_lshlrev_b32_e32 v23, 16, v9
	v_mul_f32_e32 v6, v16, v6
	v_min_f32_e32 v1, 0x43600000, v1
	v_and_b32_e32 v7, 0xffff0000, v7
	v_and_b32_e32 v8, 0xffff0000, v8
	;; [unrolled: 1-line block ×3, first 2 shown]
	v_mul_f32_e32 v21, v16, v21
	v_mul_f32_e32 v22, v16, v22
	;; [unrolled: 1-line block ×3, first 2 shown]
	v_min_f32_e32 v6, 0x43600000, v6
	v_max_f32_e32 v1, 0xc3600000, v1
	v_mul_f32_e32 v7, v16, v7
	v_mul_f32_e32 v8, v16, v8
	;; [unrolled: 1-line block ×3, first 2 shown]
	v_min_f32_e32 v16, 0x43600000, v21
	v_min_f32_e32 v21, 0x43600000, v22
	;; [unrolled: 1-line block ×3, first 2 shown]
	v_max_f32_e32 v6, 0xc3600000, v6
	v_med3_f32 v23, v1, s5, v10
	v_cmp_nlg_f32_e64 vcc, |v1|, s4
	v_min_f32_e32 v7, 0x43600000, v7
	v_max_f32_e32 v16, 0xc3600000, v16
	v_med3_f32 v24, v6, s5, v10
	v_cndmask_b32_e32 v1, v23, v1, vcc
	v_cmp_nlg_f32_e64 vcc, |v6|, s4
	v_max_f32_e32 v7, 0xc3600000, v7
	v_med3_f32 v25, v16, s5, v10
	v_cndmask_b32_e32 v6, v24, v6, vcc
	v_cmp_nlg_f32_e64 vcc, |v16|, s4
	v_min_f32_e32 v8, 0x43600000, v8
	v_max_f32_e32 v21, 0xc3600000, v21
	v_med3_f32 v26, v7, s5, v10
	v_cndmask_b32_e32 v16, v25, v16, vcc
	v_cmp_nlg_f32_e64 vcc, |v7|, s4
	v_max_f32_e32 v8, 0xc3600000, v8
	v_med3_f32 v27, v21, s5, v10
	v_cndmask_b32_e32 v7, v26, v7, vcc
	;; [unrolled: 9-line block ×3, first 2 shown]
	v_cmp_nlg_f32_e64 vcc, |v22|, s4
	v_med3_f32 v10, v9, s5, v10
	v_cvt_pk_fp8_f32 v13, v6, v6
	v_cndmask_b32_e32 v22, v29, v22, vcc
	v_cmp_nlg_f32_e64 vcc, |v9|, s4
	v_cvt_pk_fp8_f32 v19, v22, v22
	v_cvt_pk_fp8_f32 v14, v16, v16
	v_cndmask_b32_e32 v9, v10, v9, vcc
	v_cvt_pk_fp8_f32 v20, v9, v9
	v_cvt_pk_fp8_f32 v12, v1, v1
	;; [unrolled: 1-line block ×5, first 2 shown]
	v_and_b32_e32 v6, 0xff, v19
	v_lshlrev_b32_e32 v1, 24, v20
	v_lshlrev_b32_e32 v9, 16, v14
	;; [unrolled: 1-line block ×4, first 2 shown]
	v_lshlrev_b32_sdwa v7, v11, v18 dst_sel:DWORD dst_unused:UNUSED_PAD src0_sel:DWORD src1_sel:BYTE_0
	v_and_b32_e32 v8, 0xff, v17
	v_and_b32_e32 v11, 0xff, v12
	v_perm_b32 v9, v15, v9, s13
	v_and_b32_e32 v10, 0xff00, v10
	v_or_b32_e32 v1, v1, v6
	v_or3_b32 v7, v1, v7, v8
	v_or3_b32 v6, v9, v10, v11
	global_store_dwordx2 v[2:3], v[6:7], off
.LBB7_4:
	s_or_b64 exec, exec, s[2:3]
	s_cmp_lg_u64 s[6:7], 0
	s_cselect_b64 s[2:3], -1, 0
	v_cmp_eq_u32_e32 vcc, 0, v0
	s_and_b64 s[4:5], s[2:3], vcc
	s_and_saveexec_b64 s[2:3], s[4:5]
	s_cbranch_execz .LBB7_6
; %bb.5:
	v_mad_u64_u32 v[0:1], s[4:5], v5, s12, v[4:5]
	v_mov_b32_e32 v1, 0
	v_lshlrev_b64 v[0:1], 2, v[0:1]
	v_lshl_add_u64 v[2:3], s[18:19], 0, v[0:1]
	global_load_dword v2, v[2:3], off
	v_lshl_add_u64 v[0:1], s[6:7], 0, v[0:1]
	s_waitcnt vmcnt(0)
	global_store_dword v[0:1], v2, off
.LBB7_6:
	s_or_b64 exec, exec, s[2:3]
                                        ; implicit-def: $vgpr6_vgpr7
                                        ; implicit-def: $vgpr4
                                        ; implicit-def: $vgpr5
                                        ; implicit-def: $vgpr0
                                        ; implicit-def: $vgpr1
                                        ; implicit-def: $vgpr16
                                        ; implicit-def: $vgpr2_vgpr3
                                        ; implicit-def: $vgpr10_vgpr11
.LBB7_7:
	s_andn2_saveexec_b64 s[0:1], s[0:1]
	s_cbranch_execz .LBB7_19
; %bb.8:
	v_mad_u64_u32 v[4:5], s[0:1], v5, s12, v[4:5]
	v_mov_b32_e32 v5, 0
	v_lshlrev_b64 v[8:9], 2, v[4:5]
	v_lshl_add_u64 v[12:13], s[10:11], 0, v[8:9]
	global_load_dword v12, v[12:13], off
	v_lshl_add_u64 v[8:9], s[18:19], 0, v[8:9]
	global_load_dword v13, v[8:9], off
	v_mov_b32_e32 v17, 0x204
	v_mov_b32_e32 v8, s8
	;; [unrolled: 1-line block ×4, first 2 shown]
	v_lshl_add_u64 v[14:15], v[6:7], 1, v[8:9]
	s_mov_b32 s8, 0x7f800000
	s_waitcnt vmcnt(1)
	v_cmp_class_f32_e32 vcc, v12, v17
	s_nop 1
	v_cndmask_b32_e32 v8, v12, v18, vcc
	s_waitcnt vmcnt(0)
	v_cmp_class_f32_e32 vcc, v13, v17
	v_max_f32_e32 v6, v8, v8
	s_nop 0
	v_cndmask_b32_e32 v9, v13, v18, vcc
	v_max_f32_e32 v7, v9, v9
	v_max_f32_e32 v6, v6, v7
	v_cmp_neq_f32_e64 s[0:1], |v6|, s8
	s_and_saveexec_b64 s[2:3], s[0:1]
	s_xor_b64 s[2:3], exec, s[2:3]
	s_cbranch_execz .LBB7_14
; %bb.9:
	v_pk_add_f32 v[8:9], v[8:9], v[6:7] op_sel_hi:[1,0] neg_lo:[0,1] neg_hi:[0,1]
	s_mov_b32 s0, 0x3fb8aa3b
	v_mul_f32_e32 v7, 0x3fb8aa3b, v9
	v_fma_f32 v12, v9, s0, -v7
	v_rndne_f32_e32 v13, v7
	v_fmac_f32_e32 v12, 0x32a5705f, v9
	v_sub_f32_e32 v7, v7, v13
	v_add_f32_e32 v7, v7, v12
	v_exp_f32_e32 v7, v7
	v_cvt_i32_f32_e32 v12, v13
	s_mov_b32 s1, 0xc2ce8ed0
	v_cmp_ngt_f32_e32 vcc, s1, v9
	s_mov_b32 s4, 0x42b17218
	v_ldexp_f32 v7, v7, v12
	v_mul_f32_e32 v12, 0x3fb8aa3b, v8
	v_fma_f32 v13, v8, s0, -v12
	v_rndne_f32_e32 v17, v12
	v_fmac_f32_e32 v13, 0x32a5705f, v8
	v_sub_f32_e32 v12, v12, v17
	v_add_f32_e32 v12, v12, v13
	v_exp_f32_e32 v12, v12
	v_cvt_i32_f32_e32 v17, v17
	v_cndmask_b32_e32 v7, 0, v7, vcc
	v_mov_b32_e32 v18, 0x7f800000
	v_cmp_nlt_f32_e32 vcc, s4, v9
	s_nop 1
	v_cndmask_b32_e32 v13, v18, v7, vcc
	v_ldexp_f32 v7, v12, v17
	v_cmp_ngt_f32_e32 vcc, s1, v8
	s_nop 1
	v_cndmask_b32_e32 v7, 0, v7, vcc
	v_cmp_nlt_f32_e32 vcc, s4, v8
	v_mov_b32_e32 v8, v13
	s_nop 0
	v_cndmask_b32_e32 v12, v18, v7, vcc
	v_pk_add_f32 v[8:9], v[12:13], v[8:9] op_sel_hi:[1,0]
	v_cmp_gt_u32_e32 vcc, s14, v1
	s_and_saveexec_b64 s[4:5], vcc
	s_cbranch_execz .LBB7_11
; %bb.10:
	v_mov_b32_e32 v1, 0
	v_lshlrev_b64 v[18:19], 4, v[0:1]
	v_lshl_add_u64 v[10:11], v[10:11], 0, v[18:19]
	v_lshl_add_u64 v[14:15], v[14:15], 0, v[18:19]
	global_load_dwordx4 v[18:21], v[10:11], off
	global_load_dwordx4 v[22:25], v[14:15], off
	v_div_scale_f32 v7, s[0:1], v8, v8, v13
	v_div_scale_f32 v10, s[0:1], v8, v8, v12
	v_rcp_f32_e32 v15, v7
	v_rcp_f32_e32 v17, v10
	v_div_scale_f32 v9, vcc, v13, v8, v13
	v_fma_f32 v29, -v7, v15, 1.0
	v_fma_f32 v30, -v10, v17, 1.0
	v_fmac_f32_e32 v15, v29, v15
	v_div_scale_f32 v11, s[0:1], v12, v8, v12
	v_fmac_f32_e32 v17, v30, v17
	v_mul_f32_e32 v29, v9, v15
	v_mul_f32_e32 v30, v11, v17
	v_fma_f32 v31, -v7, v29, v9
	v_fma_f32 v32, -v10, v30, v11
	v_fmac_f32_e32 v29, v31, v15
	v_fmac_f32_e32 v30, v32, v17
	v_fma_f32 v7, -v7, v29, v9
	v_fma_f32 v9, -v10, v30, v11
	v_div_fmas_f32 v7, v7, v15, v29
	s_mov_b64 vcc, s[0:1]
	v_div_fixup_f32 v11, v7, v8, v13
	v_div_fmas_f32 v7, v9, v17, v30
	v_div_fixup_f32 v10, v7, v8, v12
	s_mov_b32 s9, 0x43700000
	v_mov_b32_e32 v14, 0xc3700000
	v_mov_b32_e32 v26, v1
	;; [unrolled: 1-line block ×4, first 2 shown]
	v_lshl_add_u64 v[2:3], v[0:1], 3, v[2:3]
	s_mov_b32 s0, 0x4020c0c
	s_waitcnt vmcnt(1)
	v_lshlrev_b32_e32 v13, 16, v18
	s_waitcnt vmcnt(0)
	v_lshlrev_b32_e32 v12, 16, v22
	v_and_b32_e32 v9, 0xffff0000, v18
	v_pk_mul_f32 v[12:13], v[10:11], v[12:13]
	v_and_b32_e32 v7, 0xffff0000, v22
	v_mul_f32_e32 v9, v11, v9
	v_add_f32_e32 v12, v12, v13
	v_fmac_f32_e32 v9, v10, v7
	v_mul_f32_e32 v7, v16, v12
	v_lshlrev_b32_e32 v17, 16, v19
	v_min_f32_e32 v7, 0x43600000, v7
	v_lshlrev_b32_e32 v15, 16, v23
	v_and_b32_e32 v18, 0xffff0000, v23
	v_and_b32_e32 v19, 0xffff0000, v19
	v_lshlrev_b32_e32 v23, 16, v20
	v_and_b32_e32 v20, 0xffff0000, v20
	v_lshlrev_b32_e32 v30, 16, v21
	v_and_b32_e32 v21, 0xffff0000, v21
	v_mul_f32_e32 v17, v11, v17
	v_max_f32_e32 v7, 0xc3600000, v7
	v_lshlrev_b32_e32 v22, 16, v24
	v_and_b32_e32 v24, 0xffff0000, v24
	v_lshlrev_b32_e32 v29, 16, v25
	v_and_b32_e32 v25, 0xffff0000, v25
	v_mul_f32_e32 v19, v11, v19
	v_mul_f32_e32 v23, v11, v23
	;; [unrolled: 1-line block ×5, first 2 shown]
	v_fmac_f32_e32 v17, v10, v15
	v_mul_f32_e32 v9, v16, v9
	v_med3_f32 v12, v7, s9, v14
	v_cmp_nlg_f32_e64 vcc, |v7|, s8
	v_fmac_f32_e32 v19, v10, v18
	v_fmac_f32_e32 v23, v10, v22
	;; [unrolled: 1-line block ×5, first 2 shown]
	v_mul_f32_e32 v10, v16, v17
	v_min_f32_e32 v9, 0x43600000, v9
	v_cndmask_b32_e32 v7, v12, v7, vcc
	v_min_f32_e32 v10, 0x43600000, v10
	v_max_f32_e32 v9, 0xc3600000, v9
	v_cvt_pk_fp8_f32 v26, v7, v7
	v_mul_f32_e32 v7, v16, v19
	v_max_f32_e32 v10, 0xc3600000, v10
	v_med3_f32 v13, v9, s9, v14
	v_cmp_nlg_f32_e64 vcc, |v9|, s8
	v_min_f32_e32 v7, 0x43600000, v7
	v_med3_f32 v15, v10, s9, v14
	v_cndmask_b32_e32 v9, v13, v9, vcc
	v_cmp_nlg_f32_e64 vcc, |v10|, s8
	v_max_f32_e32 v7, 0xc3600000, v7
	v_cvt_pk_fp8_f32 v27, v9, v9
	v_cndmask_b32_e32 v10, v15, v10, vcc
	v_med3_f32 v9, v7, s9, v14
	v_cmp_nlg_f32_e64 vcc, |v7|, s8
	v_cvt_pk_fp8_f32 v28, v10, v10
	v_mul_f32_e32 v13, v16, v30
	v_cndmask_b32_e32 v7, v9, v7, vcc
	v_mov_b32_e32 v9, v1
	v_cvt_pk_fp8_f32 v9, v7, v7
	v_mul_f32_e32 v7, v16, v23
	v_min_f32_e32 v7, 0x43600000, v7
	v_max_f32_e32 v7, 0xc3600000, v7
	v_med3_f32 v10, v7, s9, v14
	v_cmp_nlg_f32_e64 vcc, |v7|, s8
	v_min_f32_e32 v13, 0x43600000, v13
	v_mul_f32_e32 v11, v16, v11
	v_cndmask_b32_e32 v7, v10, v7, vcc
	v_mov_b32_e32 v10, v1
	v_cvt_pk_fp8_f32 v10, v7, v7
	v_mul_f32_e32 v7, v16, v20
	v_min_f32_e32 v7, 0x43600000, v7
	v_max_f32_e32 v7, 0xc3600000, v7
	v_med3_f32 v12, v7, s9, v14
	v_cmp_nlg_f32_e64 vcc, |v7|, s8
	v_max_f32_e32 v13, 0xc3600000, v13
	v_min_f32_e32 v11, 0x43600000, v11
	v_cndmask_b32_e32 v7, v12, v7, vcc
	v_med3_f32 v15, v13, s9, v14
	v_cmp_nlg_f32_e64 vcc, |v13|, s8
	v_max_f32_e32 v11, 0xc3600000, v11
	v_med3_f32 v14, v11, s9, v14
	v_cndmask_b32_e32 v13, v15, v13, vcc
	v_mov_b32_e32 v15, v1
	v_cmp_nlg_f32_e64 vcc, |v11|, s8
	v_cvt_pk_fp8_f32 v15, v13, v13
	v_mov_b32_e32 v12, v1
	v_cndmask_b32_e32 v11, v14, v11, vcc
	v_mov_b32_e32 v14, v1
	v_cvt_pk_fp8_f32 v14, v11, v11
	v_cvt_pk_fp8_f32 v12, v7, v7
	v_and_b32_e32 v7, 0xff, v15
	v_lshlrev_b32_e32 v7, 16, v7
	v_lshlrev_b32_e32 v1, 24, v14
	v_or_b32_e32 v1, v1, v7
	v_mov_b32_e32 v7, 8
	v_lshlrev_b32_sdwa v7, v7, v12 dst_sel:DWORD dst_unused:UNUSED_PAD src0_sel:DWORD src1_sel:BYTE_0
	v_and_b32_e32 v10, 0xff, v10
	v_or3_b32 v11, v1, v7, v10
	v_lshlrev_b32_e32 v1, 16, v28
	v_lshlrev_b32_e32 v7, 8, v27
	v_perm_b32 v1, v9, v1, s0
	v_and_b32_e32 v9, 0xff, v26
	v_and_b32_e32 v7, 0xff00, v7
	v_or3_b32 v10, v1, v7, v9
	global_store_dwordx2 v[2:3], v[10:11], off
.LBB7_11:
	s_or_b64 exec, exec, s[4:5]
	s_cmp_lg_u64 s[6:7], 0
	s_cselect_b64 s[0:1], -1, 0
	v_cmp_eq_u32_e32 vcc, 0, v0
	s_and_b64 s[0:1], s[0:1], vcc
	s_and_saveexec_b64 s[4:5], s[0:1]
	s_cbranch_execz .LBB7_13
; %bb.12:
	s_mov_b32 s0, 0x800000
	v_mov_b32_e32 v0, 0x4f800000
	v_cmp_gt_f32_e32 vcc, s0, v8
	s_mov_b32 s0, 0x3f317217
	s_nop 0
	v_cndmask_b32_e32 v0, 1.0, v0, vcc
	v_mul_f32_e32 v0, v8, v0
	v_log_f32_e32 v2, v0
	v_lshl_add_u64 v[0:1], v[4:5], 2, s[6:7]
	v_mul_f32_e32 v3, 0x3f317217, v2
	v_fma_f32 v4, v2, s0, -v3
	v_fmamk_f32 v4, v2, 0x3377d1cf, v4
	s_mov_b32 s0, 0x7f800000
	v_add_f32_e32 v3, v3, v4
	v_cmp_lt_f32_e64 s[0:1], |v2|, s0
	s_nop 1
	v_cndmask_b32_e64 v2, v2, v3, s[0:1]
	v_mov_b32_e32 v3, 0x41b17218
	v_cndmask_b32_e32 v3, 0, v3, vcc
	v_sub_f32_e32 v2, v2, v3
	v_add_f32_e32 v2, v6, v2
	global_store_dword v[0:1], v2, off
.LBB7_13:
	s_or_b64 exec, exec, s[4:5]
                                        ; implicit-def: $vgpr0
                                        ; implicit-def: $vgpr4_vgpr5
                                        ; implicit-def: $vgpr6
                                        ; implicit-def: $vgpr1
                                        ; implicit-def: $vgpr14_vgpr15
                                        ; implicit-def: $vgpr16
                                        ; implicit-def: $vgpr2_vgpr3
.LBB7_14:
	s_andn2_saveexec_b64 s[0:1], s[2:3]
	s_cbranch_execz .LBB7_19
; %bb.15:
	v_cmp_gt_u32_e32 vcc, s14, v1
	s_and_saveexec_b64 s[0:1], vcc
	s_cbranch_execz .LBB7_17
; %bb.16:
	v_mov_b32_e32 v1, 0
	v_lshl_add_u64 v[8:9], v[0:1], 4, v[14:15]
	global_load_dwordx4 v[8:11], v[8:9], off
	v_mov_b32_e32 v13, v1
	v_mov_b32_e32 v14, v1
	v_mov_b32_e32 v15, v1
	v_mov_b32_e32 v17, v1
	v_mov_b32_e32 v18, v1
	v_mov_b32_e32 v19, v1
	v_mov_b32_e32 v20, v1
	v_mov_b32_e32 v21, v1
	v_lshl_add_u64 v[2:3], v[0:1], 3, v[2:3]
	s_mov_b32 s2, 0x7f800000
	s_mov_b32 s3, 0x43700000
	v_mov_b32_e32 v7, 0xc3700000
	v_mov_b32_e32 v12, 8
	s_mov_b32 s4, 0x4020c0c
	s_waitcnt vmcnt(0)
	v_lshlrev_b32_e32 v1, 16, v8
	v_and_b32_e32 v8, 0xffff0000, v8
	v_mul_f32_e32 v1, v16, v1
	v_lshlrev_b32_e32 v22, 16, v9
	v_lshlrev_b32_e32 v23, 16, v10
	;; [unrolled: 1-line block ×3, first 2 shown]
	v_mul_f32_e32 v8, v16, v8
	v_min_f32_e32 v1, 0x43600000, v1
	v_and_b32_e32 v9, 0xffff0000, v9
	v_and_b32_e32 v10, 0xffff0000, v10
	;; [unrolled: 1-line block ×3, first 2 shown]
	v_mul_f32_e32 v22, v16, v22
	v_mul_f32_e32 v23, v16, v23
	;; [unrolled: 1-line block ×3, first 2 shown]
	v_min_f32_e32 v8, 0x43600000, v8
	v_max_f32_e32 v1, 0xc3600000, v1
	v_mul_f32_e32 v9, v16, v9
	v_mul_f32_e32 v10, v16, v10
	;; [unrolled: 1-line block ×3, first 2 shown]
	v_min_f32_e32 v16, 0x43600000, v22
	v_min_f32_e32 v22, 0x43600000, v23
	;; [unrolled: 1-line block ×3, first 2 shown]
	v_max_f32_e32 v8, 0xc3600000, v8
	v_med3_f32 v24, v1, s3, v7
	v_cmp_nlg_f32_e64 vcc, |v1|, s2
	v_min_f32_e32 v9, 0x43600000, v9
	v_max_f32_e32 v16, 0xc3600000, v16
	v_med3_f32 v25, v8, s3, v7
	v_cndmask_b32_e32 v1, v24, v1, vcc
	v_cmp_nlg_f32_e64 vcc, |v8|, s2
	v_max_f32_e32 v9, 0xc3600000, v9
	v_med3_f32 v26, v16, s3, v7
	v_cndmask_b32_e32 v8, v25, v8, vcc
	v_cmp_nlg_f32_e64 vcc, |v16|, s2
	v_min_f32_e32 v10, 0x43600000, v10
	v_max_f32_e32 v22, 0xc3600000, v22
	v_med3_f32 v27, v9, s3, v7
	v_cndmask_b32_e32 v16, v26, v16, vcc
	v_cmp_nlg_f32_e64 vcc, |v9|, s2
	v_max_f32_e32 v10, 0xc3600000, v10
	v_med3_f32 v28, v22, s3, v7
	v_cndmask_b32_e32 v9, v27, v9, vcc
	;; [unrolled: 9-line block ×3, first 2 shown]
	v_cmp_nlg_f32_e64 vcc, |v23|, s2
	v_med3_f32 v7, v11, s3, v7
	v_cvt_pk_fp8_f32 v14, v8, v8
	v_cndmask_b32_e32 v23, v30, v23, vcc
	v_cmp_nlg_f32_e64 vcc, |v11|, s2
	v_cvt_pk_fp8_f32 v20, v23, v23
	v_cvt_pk_fp8_f32 v15, v16, v16
	v_cndmask_b32_e32 v7, v7, v11, vcc
	v_cvt_pk_fp8_f32 v21, v7, v7
	v_cvt_pk_fp8_f32 v13, v1, v1
	;; [unrolled: 1-line block ×5, first 2 shown]
	v_and_b32_e32 v7, 0xff, v20
	v_lshlrev_b32_e32 v1, 24, v21
	v_lshlrev_b32_e32 v10, 16, v15
	;; [unrolled: 1-line block ×4, first 2 shown]
	v_lshlrev_b32_sdwa v8, v12, v19 dst_sel:DWORD dst_unused:UNUSED_PAD src0_sel:DWORD src1_sel:BYTE_0
	v_and_b32_e32 v9, 0xff, v18
	v_and_b32_e32 v12, 0xff, v13
	v_perm_b32 v10, v17, v10, s4
	v_and_b32_e32 v11, 0xff00, v11
	v_or_b32_e32 v1, v1, v7
	v_or3_b32 v9, v1, v8, v9
	v_or3_b32 v8, v10, v11, v12
	global_store_dwordx2 v[2:3], v[8:9], off
.LBB7_17:
	s_or_b64 exec, exec, s[0:1]
	s_cmp_lg_u64 s[6:7], 0
	s_cselect_b64 s[0:1], -1, 0
	v_cmp_eq_u32_e32 vcc, 0, v0
	s_and_b64 s[0:1], s[0:1], vcc
	s_and_saveexec_b64 s[2:3], s[0:1]
	s_cbranch_execz .LBB7_19
; %bb.18:
	v_lshl_add_u64 v[0:1], v[4:5], 2, s[6:7]
	global_store_dword v[0:1], v6, off
.LBB7_19:
	s_endpgm
	.section	.rodata,"a",@progbits
	.p2align	6, 0x0
	.amdhsa_kernel _ZN4vllm24merge_attn_states_kernelI14__hip_bfloat16N3c1015Float8_e4m3fnuzELj128ELb1EEEvPT0_PfPKT_PKfS9_SB_jjjjjjSB_
		.amdhsa_group_segment_fixed_size 0
		.amdhsa_private_segment_fixed_size 0
		.amdhsa_kernarg_size 80
		.amdhsa_user_sgpr_count 2
		.amdhsa_user_sgpr_dispatch_ptr 0
		.amdhsa_user_sgpr_queue_ptr 0
		.amdhsa_user_sgpr_kernarg_segment_ptr 1
		.amdhsa_user_sgpr_dispatch_id 0
		.amdhsa_user_sgpr_kernarg_preload_length 0
		.amdhsa_user_sgpr_kernarg_preload_offset 0
		.amdhsa_user_sgpr_private_segment_size 0
		.amdhsa_uses_dynamic_stack 0
		.amdhsa_enable_private_segment 0
		.amdhsa_system_sgpr_workgroup_id_x 1
		.amdhsa_system_sgpr_workgroup_id_y 0
		.amdhsa_system_sgpr_workgroup_id_z 0
		.amdhsa_system_sgpr_workgroup_info 0
		.amdhsa_system_vgpr_workitem_id 0
		.amdhsa_next_free_vgpr 33
		.amdhsa_next_free_sgpr 24
		.amdhsa_accum_offset 36
		.amdhsa_reserve_vcc 1
		.amdhsa_float_round_mode_32 0
		.amdhsa_float_round_mode_16_64 0
		.amdhsa_float_denorm_mode_32 3
		.amdhsa_float_denorm_mode_16_64 3
		.amdhsa_dx10_clamp 1
		.amdhsa_ieee_mode 1
		.amdhsa_fp16_overflow 0
		.amdhsa_tg_split 0
		.amdhsa_exception_fp_ieee_invalid_op 0
		.amdhsa_exception_fp_denorm_src 0
		.amdhsa_exception_fp_ieee_div_zero 0
		.amdhsa_exception_fp_ieee_overflow 0
		.amdhsa_exception_fp_ieee_underflow 0
		.amdhsa_exception_fp_ieee_inexact 0
		.amdhsa_exception_int_div_zero 0
	.end_amdhsa_kernel
	.section	.text._ZN4vllm24merge_attn_states_kernelI14__hip_bfloat16N3c1015Float8_e4m3fnuzELj128ELb1EEEvPT0_PfPKT_PKfS9_SB_jjjjjjSB_,"axG",@progbits,_ZN4vllm24merge_attn_states_kernelI14__hip_bfloat16N3c1015Float8_e4m3fnuzELj128ELb1EEEvPT0_PfPKT_PKfS9_SB_jjjjjjSB_,comdat
.Lfunc_end7:
	.size	_ZN4vllm24merge_attn_states_kernelI14__hip_bfloat16N3c1015Float8_e4m3fnuzELj128ELb1EEEvPT0_PfPKT_PKfS9_SB_jjjjjjSB_, .Lfunc_end7-_ZN4vllm24merge_attn_states_kernelI14__hip_bfloat16N3c1015Float8_e4m3fnuzELj128ELb1EEEvPT0_PfPKT_PKfS9_SB_jjjjjjSB_
                                        ; -- End function
	.section	.AMDGPU.csdata,"",@progbits
; Kernel info:
; codeLenInByte = 3316
; NumSgprs: 30
; NumVgprs: 33
; NumAgprs: 0
; TotalNumVgprs: 33
; ScratchSize: 0
; MemoryBound: 0
; FloatMode: 240
; IeeeMode: 1
; LDSByteSize: 0 bytes/workgroup (compile time only)
; SGPRBlocks: 3
; VGPRBlocks: 4
; NumSGPRsForWavesPerEU: 30
; NumVGPRsForWavesPerEU: 33
; AccumOffset: 36
; Occupancy: 8
; WaveLimiterHint : 0
; COMPUTE_PGM_RSRC2:SCRATCH_EN: 0
; COMPUTE_PGM_RSRC2:USER_SGPR: 2
; COMPUTE_PGM_RSRC2:TRAP_HANDLER: 0
; COMPUTE_PGM_RSRC2:TGID_X_EN: 1
; COMPUTE_PGM_RSRC2:TGID_Y_EN: 0
; COMPUTE_PGM_RSRC2:TGID_Z_EN: 0
; COMPUTE_PGM_RSRC2:TIDIG_COMP_CNT: 0
; COMPUTE_PGM_RSRC3_GFX90A:ACCUM_OFFSET: 8
; COMPUTE_PGM_RSRC3_GFX90A:TG_SPLIT: 0
	.section	.text._ZN4vllm24merge_attn_states_kernelI14__hip_bfloat16S1_Lj128ELb0EEEvPT0_PfPKT_PKfS7_S9_jjjjjjS9_,"axG",@progbits,_ZN4vllm24merge_attn_states_kernelI14__hip_bfloat16S1_Lj128ELb0EEEvPT0_PfPKT_PKfS7_S9_jjjjjjS9_,comdat
	.protected	_ZN4vllm24merge_attn_states_kernelI14__hip_bfloat16S1_Lj128ELb0EEEvPT0_PfPKT_PKfS7_S9_jjjjjjS9_ ; -- Begin function _ZN4vllm24merge_attn_states_kernelI14__hip_bfloat16S1_Lj128ELb0EEEvPT0_PfPKT_PKfS7_S9_jjjjjjS9_
	.globl	_ZN4vllm24merge_attn_states_kernelI14__hip_bfloat16S1_Lj128ELb0EEEvPT0_PfPKT_PKfS7_S9_jjjjjjS9_
	.p2align	8
	.type	_ZN4vllm24merge_attn_states_kernelI14__hip_bfloat16S1_Lj128ELb0EEEvPT0_PfPKT_PKfS7_S9_jjjjjjS9_,@function
_ZN4vllm24merge_attn_states_kernelI14__hip_bfloat16S1_Lj128ELb0EEEvPT0_PfPKT_PKfS7_S9_jjjjjjS9_: ; @_ZN4vllm24merge_attn_states_kernelI14__hip_bfloat16S1_Lj128ELb0EEEvPT0_PfPKT_PKfS7_S9_jjjjjjS9_
; %bb.0:
	s_load_dwordx4 s[12:15], s[0:1], 0x30
	v_lshl_add_u32 v0, s2, 7, v0
	s_waitcnt lgkmcnt(0)
	s_lshr_b32 s2, s14, 3
	s_mul_i32 s3, s13, s12
	s_mul_i32 s3, s3, s2
	v_cmp_gt_u32_e32 vcc, s3, v0
	s_and_saveexec_b64 s[4:5], vcc
	s_cbranch_execz .LBB8_51
; %bb.1:
	v_cvt_f32_u32_e32 v1, s2
	s_load_dwordx8 s[4:11], s[0:1], 0x0
	s_load_dwordx2 s[20:21], s[0:1], 0x40
	s_load_dwordx4 s[16:19], s[0:1], 0x20
	s_sub_i32 s0, 0, s2
	v_rcp_iflag_f32_e32 v1, v1
	v_cvt_f32_u32_e32 v4, s13
	v_mov_b32_e32 v5, 0
	s_waitcnt lgkmcnt(0)
	v_mov_b32_e32 v10, s4
	v_mul_f32_e32 v1, 0x4f7ffffe, v1
	v_cvt_u32_f32_e32 v1, v1
	v_mov_b32_e32 v11, s5
	v_mov_b32_e32 v12, s16
	;; [unrolled: 1-line block ×3, first 2 shown]
	v_mul_lo_u32 v2, s0, v1
	v_mul_hi_u32 v2, v1, v2
	v_add_u32_e32 v1, v1, v2
	v_mul_hi_u32 v1, v0, v1
	v_mul_lo_u32 v2, v1, s2
	v_sub_u32_e32 v2, v0, v2
	v_add_u32_e32 v3, 1, v1
	v_cmp_le_u32_e32 vcc, s2, v2
	s_sub_i32 s0, 0, s13
	v_mov_b32_e32 v15, v5
	v_cndmask_b32_e32 v1, v1, v3, vcc
	v_subrev_u32_e32 v3, s2, v2
	v_cndmask_b32_e32 v2, v2, v3, vcc
	v_rcp_iflag_f32_e32 v3, v4
	v_cmp_le_u32_e32 vcc, s2, v2
	v_add_u32_e32 v4, 1, v1
	v_mul_f32_e32 v2, 0x4f7ffffe, v3
	v_cvt_u32_f32_e32 v2, v2
	v_cndmask_b32_e32 v1, v1, v4, vcc
	v_mul_lo_u32 v3, v1, s2
	v_sub_u32_e32 v8, v0, v3
	v_mul_lo_u32 v0, s0, v2
	v_mul_hi_u32 v0, v2, v0
	v_add_u32_e32 v0, v2, v0
	v_mul_hi_u32 v0, v1, v0
	v_mul_lo_u32 v2, v0, s13
	v_sub_u32_e32 v2, v1, v2
	v_add_u32_e32 v3, 1, v0
	v_cmp_le_u32_e32 vcc, s13, v2
	v_mul_lo_u32 v4, v1, s15
	v_mul_lo_u32 v14, v1, s20
	v_cndmask_b32_e32 v0, v0, v3, vcc
	v_subrev_u32_e32 v3, s13, v2
	v_cndmask_b32_e32 v2, v2, v3, vcc
	v_add_u32_e32 v3, 1, v0
	v_cmp_le_u32_e32 vcc, s13, v2
	v_lshlrev_b32_e32 v6, 3, v8
	v_lshl_add_u64 v[10:11], v[14:15], 1, v[10:11]
	v_cndmask_b32_e32 v2, v0, v3, vcc
	v_mul_lo_u32 v0, v2, s13
	v_sub_u32_e32 v3, v1, v0
	v_lshl_add_u64 v[0:1], v[4:5], 1, v[12:13]
	v_cmp_le_u32_e32 vcc, s21, v2
	s_and_saveexec_b64 s[0:1], vcc
	s_xor_b64 s[0:1], exec, s[0:1]
	s_cbranch_execz .LBB8_7
; %bb.2:
	v_cmp_gt_u32_e32 vcc, s14, v6
	s_and_saveexec_b64 s[2:3], vcc
	s_cbranch_execz .LBB8_4
; %bb.3:
	v_mov_b32_e32 v9, 0
	v_lshlrev_b64 v[12:13], 4, v[8:9]
	v_lshl_add_u64 v[0:1], v[0:1], 0, v[12:13]
	global_load_dwordx4 v[4:7], v[0:1], off
	v_lshl_add_u64 v[0:1], v[10:11], 0, v[12:13]
	s_waitcnt vmcnt(0)
	global_store_dwordx4 v[0:1], v[4:7], off
.LBB8_4:
	s_or_b64 exec, exec, s[2:3]
	s_cmp_lg_u64 s[6:7], 0
	s_cselect_b64 s[2:3], -1, 0
	v_cmp_eq_u32_e32 vcc, 0, v8
	s_and_b64 s[4:5], s[2:3], vcc
	s_and_saveexec_b64 s[2:3], s[4:5]
	s_cbranch_execz .LBB8_6
; %bb.5:
	v_mad_u64_u32 v[0:1], s[4:5], v3, s12, v[2:3]
	v_mov_b32_e32 v1, 0
	v_lshlrev_b64 v[0:1], 2, v[0:1]
	v_lshl_add_u64 v[2:3], s[18:19], 0, v[0:1]
	global_load_dword v2, v[2:3], off
	v_lshl_add_u64 v[0:1], s[6:7], 0, v[0:1]
	s_waitcnt vmcnt(0)
	global_store_dword v[0:1], v2, off
.LBB8_6:
	s_or_b64 exec, exec, s[2:3]
                                        ; implicit-def: $vgpr4_vgpr5
                                        ; implicit-def: $vgpr2
                                        ; implicit-def: $vgpr3
                                        ; implicit-def: $vgpr8
                                        ; implicit-def: $vgpr6
                                        ; implicit-def: $vgpr10_vgpr11
                                        ; implicit-def: $vgpr0_vgpr1
.LBB8_7:
	s_andn2_saveexec_b64 s[0:1], s[0:1]
	s_cbranch_execz .LBB8_51
; %bb.8:
	v_mad_u64_u32 v[12:13], s[0:1], v3, s12, v[2:3]
	v_mov_b32_e32 v13, 0
	v_lshlrev_b64 v[2:3], 2, v[12:13]
	v_lshl_add_u64 v[14:15], s[10:11], 0, v[2:3]
	global_load_dword v7, v[14:15], off
	v_lshl_add_u64 v[2:3], s[18:19], 0, v[2:3]
	global_load_dword v9, v[2:3], off
	v_mov_b32_e32 v14, 0x204
	v_mov_b32_e32 v2, s8
	;; [unrolled: 1-line block ×4, first 2 shown]
	v_lshl_add_u64 v[2:3], v[4:5], 1, v[2:3]
	s_mov_b32 s8, 0x7f800000
	s_waitcnt vmcnt(1)
	v_cmp_class_f32_e32 vcc, v7, v14
	s_nop 1
	v_cndmask_b32_e32 v4, v7, v15, vcc
	s_waitcnt vmcnt(0)
	v_cmp_class_f32_e32 vcc, v9, v14
	v_max_f32_e32 v7, v4, v4
	s_nop 0
	v_cndmask_b32_e32 v5, v9, v15, vcc
	v_max_f32_e32 v9, v5, v5
	v_max_f32_e32 v14, v7, v9
	v_cmp_neq_f32_e64 s[0:1], |v14|, s8
	s_and_saveexec_b64 s[2:3], s[0:1]
	s_xor_b64 s[2:3], exec, s[2:3]
	s_cbranch_execz .LBB8_46
; %bb.9:
	v_pk_add_f32 v[4:5], v[4:5], v[14:15] op_sel_hi:[1,0] neg_lo:[0,1] neg_hi:[0,1]
	s_mov_b32 s0, 0x3fb8aa3b
	v_mul_f32_e32 v7, 0x3fb8aa3b, v5
	v_fma_f32 v9, v5, s0, -v7
	v_rndne_f32_e32 v15, v7
	v_fmac_f32_e32 v9, 0x32a5705f, v5
	v_sub_f32_e32 v7, v7, v15
	v_add_f32_e32 v7, v7, v9
	v_exp_f32_e32 v7, v7
	v_cvt_i32_f32_e32 v9, v15
	s_mov_b32 s1, 0xc2ce8ed0
	v_cmp_ngt_f32_e32 vcc, s1, v5
	s_mov_b32 s4, 0x42b17218
	v_ldexp_f32 v7, v7, v9
	v_mul_f32_e32 v9, 0x3fb8aa3b, v4
	v_fma_f32 v15, v4, s0, -v9
	v_rndne_f32_e32 v16, v9
	v_fmac_f32_e32 v15, 0x32a5705f, v4
	v_sub_f32_e32 v9, v9, v16
	v_add_f32_e32 v9, v9, v15
	v_exp_f32_e32 v9, v9
	v_cvt_i32_f32_e32 v15, v16
	v_cndmask_b32_e32 v7, 0, v7, vcc
	v_mov_b32_e32 v16, 0x7f800000
	v_cmp_nlt_f32_e32 vcc, s4, v5
	v_ldexp_f32 v5, v9, v15
	s_nop 0
	v_cndmask_b32_e32 v19, v16, v7, vcc
	v_cmp_ngt_f32_e32 vcc, s1, v4
	s_nop 1
	v_cndmask_b32_e32 v5, 0, v5, vcc
	v_cmp_nlt_f32_e32 vcc, s4, v4
	v_mov_b32_e32 v4, v19
	s_nop 0
	v_cndmask_b32_e32 v18, v16, v5, vcc
	v_pk_add_f32 v[16:17], v[18:19], v[4:5] op_sel_hi:[1,0]
	v_cmp_gt_u32_e32 vcc, s14, v6
	s_and_saveexec_b64 s[4:5], vcc
	s_cbranch_execz .LBB8_43
; %bb.10:
	v_mov_b32_e32 v9, 0
	v_lshlrev_b64 v[4:5], 4, v[8:9]
	v_lshl_add_u64 v[22:23], v[0:1], 0, v[4:5]
	v_lshl_add_u64 v[20:21], v[2:3], 0, v[4:5]
	global_load_dwordx4 v[0:3], v[22:23], off
	global_load_dwordx4 v[4:7], v[20:21], off
	v_div_scale_f32 v15, s[0:1], v16, v16, v19
	v_div_scale_f32 v20, s[0:1], v16, v16, v18
	v_rcp_f32_e32 v21, v15
	v_rcp_f32_e32 v22, v20
	v_div_scale_f32 v17, vcc, v19, v16, v19
	v_fma_f32 v24, -v15, v21, 1.0
	v_fma_f32 v25, -v20, v22, 1.0
	v_fmac_f32_e32 v21, v24, v21
	v_div_scale_f32 v23, s[0:1], v18, v16, v18
	v_fmac_f32_e32 v22, v25, v22
	v_mul_f32_e32 v24, v17, v21
	v_mul_f32_e32 v25, v23, v22
	v_fma_f32 v26, -v15, v24, v17
	v_fma_f32 v27, -v20, v25, v23
	v_fmac_f32_e32 v24, v26, v21
	v_fmac_f32_e32 v25, v27, v22
	v_fma_f32 v15, -v15, v24, v17
	v_fma_f32 v17, -v20, v25, v23
	v_div_fmas_f32 v15, v15, v21, v24
	s_mov_b64 vcc, s[0:1]
	v_div_fixup_f32 v19, v15, v16, v19
	v_div_fmas_f32 v15, v17, v22, v25
	v_div_fixup_f32 v18, v15, v16, v18
	s_waitcnt vmcnt(1)
	v_lshlrev_b32_e32 v21, 16, v0
	s_waitcnt vmcnt(0)
	v_lshlrev_b32_e32 v20, 16, v4
	v_pk_mul_f32 v[22:23], v[18:19], v[20:21]
	s_nop 0
	v_mov_b32_e32 v22, v23
	v_pk_fma_f32 v[20:21], v[18:19], v[20:21], v[22:23]
	s_nop 0
	v_and_b32_e32 v15, 0x7f800000, v20
	v_cmp_ne_u32_e32 vcc, s8, v15
                                        ; implicit-def: $vgpr15
	s_and_saveexec_b64 s[0:1], vcc
	s_xor_b64 s[0:1], exec, s[0:1]
; %bb.11:
	v_bfe_u32 v15, v20, 16, 1
	s_movk_i32 s8, 0x7fff
	v_add3_u32 v15, v20, v15, s8
                                        ; implicit-def: $vgpr20_vgpr21
; %bb.12:
	s_andn2_saveexec_b64 s[0:1], s[0:1]
; %bb.13:
	v_mov_b32_e32 v15, 0
	v_or_b32_e32 v17, 0x10000, v20
	v_cmp_eq_u32_sdwa vcc, v20, v15 src0_sel:WORD_0 src1_sel:DWORD
	s_nop 1
	v_cndmask_b32_e32 v15, v17, v20, vcc
; %bb.14:
	s_or_b64 exec, exec, s[0:1]
	v_and_b32_e32 v0, 0xffff0000, v0
	v_and_b32_e32 v17, 0xffff0000, v4
	v_mul_f32_e32 v4, v19, v0
	v_fmac_f32_e32 v4, v18, v17
	s_mov_b32 s0, 0x7f800000
	v_and_b32_e32 v0, 0x7f800000, v4
	v_cmp_ne_u32_e32 vcc, s0, v0
                                        ; implicit-def: $vgpr0
	s_and_saveexec_b64 s[0:1], vcc
	s_xor_b64 s[0:1], exec, s[0:1]
; %bb.15:
	v_bfe_u32 v0, v4, 16, 1
	s_movk_i32 s8, 0x7fff
	v_add3_u32 v0, v4, v0, s8
                                        ; implicit-def: $vgpr4
; %bb.16:
	s_andn2_saveexec_b64 s[0:1], s[0:1]
; %bb.17:
	v_mov_b32_e32 v0, 0
	v_or_b32_e32 v17, 0x10000, v4
	v_cmp_eq_u32_sdwa vcc, v4, v0 src0_sel:WORD_0 src1_sel:DWORD
	s_nop 1
	v_cndmask_b32_e32 v0, v17, v4, vcc
; %bb.18:
	s_or_b64 exec, exec, s[0:1]
	v_lshlrev_b32_e32 v17, 16, v1
	v_lshlrev_b32_e32 v4, 16, v5
	v_mul_f32_e32 v17, v19, v17
	v_fmac_f32_e32 v17, v18, v4
	s_mov_b32 s0, 0x7f800000
	v_and_b32_e32 v4, 0x7f800000, v17
	v_cmp_ne_u32_e32 vcc, s0, v4
                                        ; implicit-def: $vgpr4
	s_and_saveexec_b64 s[0:1], vcc
	s_xor_b64 s[0:1], exec, s[0:1]
; %bb.19:
	v_bfe_u32 v4, v17, 16, 1
	s_movk_i32 s8, 0x7fff
	v_add3_u32 v4, v17, v4, s8
                                        ; implicit-def: $vgpr17
; %bb.20:
	s_andn2_saveexec_b64 s[0:1], s[0:1]
; %bb.21:
	v_mov_b32_e32 v4, 0
	v_or_b32_e32 v20, 0x10000, v17
	v_cmp_eq_u32_sdwa vcc, v17, v4 src0_sel:WORD_0 src1_sel:DWORD
	s_nop 1
	v_cndmask_b32_e32 v4, v20, v17, vcc
; %bb.22:
	s_or_b64 exec, exec, s[0:1]
	v_and_b32_e32 v1, 0xffff0000, v1
	v_and_b32_e32 v17, 0xffff0000, v5
	v_mul_f32_e32 v5, v19, v1
	v_fmac_f32_e32 v5, v18, v17
	s_mov_b32 s0, 0x7f800000
	v_and_b32_e32 v1, 0x7f800000, v5
	v_cmp_ne_u32_e32 vcc, s0, v1
                                        ; implicit-def: $vgpr1
	s_and_saveexec_b64 s[0:1], vcc
	s_xor_b64 s[0:1], exec, s[0:1]
; %bb.23:
	v_bfe_u32 v1, v5, 16, 1
	s_movk_i32 s8, 0x7fff
	v_add3_u32 v1, v5, v1, s8
                                        ; implicit-def: $vgpr5
; %bb.24:
	s_andn2_saveexec_b64 s[0:1], s[0:1]
; %bb.25:
	v_mov_b32_e32 v1, 0
	v_or_b32_e32 v17, 0x10000, v5
	v_cmp_eq_u32_sdwa vcc, v5, v1 src0_sel:WORD_0 src1_sel:DWORD
	s_nop 1
	v_cndmask_b32_e32 v1, v17, v5, vcc
; %bb.26:
	s_or_b64 exec, exec, s[0:1]
	v_lshlrev_b32_e32 v17, 16, v2
	v_lshlrev_b32_e32 v5, 16, v6
	v_mul_f32_e32 v17, v19, v17
	v_fmac_f32_e32 v17, v18, v5
	s_mov_b32 s0, 0x7f800000
	v_and_b32_e32 v5, 0x7f800000, v17
	v_cmp_ne_u32_e32 vcc, s0, v5
                                        ; implicit-def: $vgpr5
	s_and_saveexec_b64 s[0:1], vcc
	s_xor_b64 s[0:1], exec, s[0:1]
; %bb.27:
	v_bfe_u32 v5, v17, 16, 1
	s_movk_i32 s8, 0x7fff
	v_add3_u32 v5, v17, v5, s8
                                        ; implicit-def: $vgpr17
; %bb.28:
	s_andn2_saveexec_b64 s[0:1], s[0:1]
; %bb.29:
	v_mov_b32_e32 v5, 0
	v_or_b32_e32 v20, 0x10000, v17
	v_cmp_eq_u32_sdwa vcc, v17, v5 src0_sel:WORD_0 src1_sel:DWORD
	s_nop 1
	v_cndmask_b32_e32 v5, v20, v17, vcc
; %bb.30:
	s_or_b64 exec, exec, s[0:1]
	v_and_b32_e32 v2, 0xffff0000, v2
	v_and_b32_e32 v17, 0xffff0000, v6
	v_mul_f32_e32 v6, v19, v2
	v_fmac_f32_e32 v6, v18, v17
	s_mov_b32 s0, 0x7f800000
	v_and_b32_e32 v2, 0x7f800000, v6
	v_cmp_ne_u32_e32 vcc, s0, v2
                                        ; implicit-def: $vgpr2
	s_and_saveexec_b64 s[0:1], vcc
	s_xor_b64 s[0:1], exec, s[0:1]
; %bb.31:
	v_bfe_u32 v2, v6, 16, 1
	s_movk_i32 s8, 0x7fff
	v_add3_u32 v2, v6, v2, s8
                                        ; implicit-def: $vgpr6
; %bb.32:
	s_andn2_saveexec_b64 s[0:1], s[0:1]
; %bb.33:
	v_mov_b32_e32 v2, 0
	v_or_b32_e32 v17, 0x10000, v6
	v_cmp_eq_u32_sdwa vcc, v6, v2 src0_sel:WORD_0 src1_sel:DWORD
	s_nop 1
	v_cndmask_b32_e32 v2, v17, v6, vcc
; %bb.34:
	s_or_b64 exec, exec, s[0:1]
	v_lshlrev_b32_e32 v17, 16, v3
	v_lshlrev_b32_e32 v6, 16, v7
	v_mul_f32_e32 v17, v19, v17
	v_fmac_f32_e32 v17, v18, v6
	s_mov_b32 s0, 0x7f800000
	v_and_b32_e32 v6, 0x7f800000, v17
	v_cmp_ne_u32_e32 vcc, s0, v6
                                        ; implicit-def: $vgpr6
	s_and_saveexec_b64 s[0:1], vcc
	s_xor_b64 s[0:1], exec, s[0:1]
; %bb.35:
	v_bfe_u32 v6, v17, 16, 1
	s_movk_i32 s8, 0x7fff
	v_add3_u32 v6, v17, v6, s8
                                        ; implicit-def: $vgpr17
; %bb.36:
	s_andn2_saveexec_b64 s[0:1], s[0:1]
; %bb.37:
	v_mov_b32_e32 v6, 0
	v_or_b32_e32 v20, 0x10000, v17
	v_cmp_eq_u32_sdwa vcc, v17, v6 src0_sel:WORD_0 src1_sel:DWORD
	s_nop 1
	v_cndmask_b32_e32 v6, v20, v17, vcc
; %bb.38:
	s_or_b64 exec, exec, s[0:1]
	v_and_b32_e32 v3, 0xffff0000, v3
	v_and_b32_e32 v7, 0xffff0000, v7
	v_mul_f32_e32 v3, v19, v3
	v_fmac_f32_e32 v3, v18, v7
	s_mov_b32 s0, 0x7f800000
	v_and_b32_e32 v7, 0x7f800000, v3
	v_cmp_ne_u32_e32 vcc, s0, v7
                                        ; implicit-def: $vgpr7
	s_and_saveexec_b64 s[0:1], vcc
	s_xor_b64 s[0:1], exec, s[0:1]
; %bb.39:
	v_bfe_u32 v7, v3, 16, 1
	s_movk_i32 s8, 0x7fff
	v_add3_u32 v7, v3, v7, s8
                                        ; implicit-def: $vgpr3
; %bb.40:
	s_andn2_saveexec_b64 s[0:1], s[0:1]
; %bb.41:
	v_mov_b32_e32 v7, 0
	v_or_b32_e32 v17, 0x10000, v3
	v_cmp_eq_u32_sdwa vcc, v3, v7 src0_sel:WORD_0 src1_sel:DWORD
	s_nop 1
	v_cndmask_b32_e32 v7, v17, v3, vcc
; %bb.42:
	s_or_b64 exec, exec, s[0:1]
	s_mov_b32 s0, 0x7060302
	v_lshl_add_u64 v[10:11], v[8:9], 4, v[10:11]
	v_perm_b32 v3, v7, v6, s0
	v_perm_b32 v2, v2, v5, s0
	;; [unrolled: 1-line block ×4, first 2 shown]
	global_store_dwordx4 v[10:11], v[0:3], off
.LBB8_43:
	s_or_b64 exec, exec, s[4:5]
	s_cmp_lg_u64 s[6:7], 0
	s_cselect_b64 s[0:1], -1, 0
	v_cmp_eq_u32_e32 vcc, 0, v8
	s_and_b64 s[0:1], s[0:1], vcc
	s_and_saveexec_b64 s[4:5], s[0:1]
	s_cbranch_execz .LBB8_45
; %bb.44:
	s_mov_b32 s0, 0x800000
	v_mov_b32_e32 v0, 0x4f800000
	v_cmp_gt_f32_e32 vcc, s0, v16
	s_mov_b32 s0, 0x3f317217
	s_nop 0
	v_cndmask_b32_e32 v0, 1.0, v0, vcc
	v_mul_f32_e32 v0, v16, v0
	v_log_f32_e32 v2, v0
	v_lshl_add_u64 v[0:1], v[12:13], 2, s[6:7]
	v_mul_f32_e32 v3, 0x3f317217, v2
	v_fma_f32 v4, v2, s0, -v3
	v_fmamk_f32 v4, v2, 0x3377d1cf, v4
	s_mov_b32 s0, 0x7f800000
	v_add_f32_e32 v3, v3, v4
	v_cmp_lt_f32_e64 s[0:1], |v2|, s0
	s_nop 1
	v_cndmask_b32_e64 v2, v2, v3, s[0:1]
	v_mov_b32_e32 v3, 0x41b17218
	v_cndmask_b32_e32 v3, 0, v3, vcc
	v_sub_f32_e32 v2, v2, v3
	v_add_f32_e32 v2, v14, v2
	global_store_dword v[0:1], v2, off
.LBB8_45:
	s_or_b64 exec, exec, s[4:5]
                                        ; implicit-def: $vgpr8
                                        ; implicit-def: $vgpr12_vgpr13
                                        ; implicit-def: $vgpr14
                                        ; implicit-def: $vgpr6
                                        ; implicit-def: $vgpr10_vgpr11
                                        ; implicit-def: $vgpr2_vgpr3
.LBB8_46:
	s_andn2_saveexec_b64 s[0:1], s[2:3]
	s_cbranch_execz .LBB8_51
; %bb.47:
	v_cmp_gt_u32_e32 vcc, s14, v6
	s_and_saveexec_b64 s[0:1], vcc
	s_cbranch_execz .LBB8_49
; %bb.48:
	v_mov_b32_e32 v9, 0
	v_lshlrev_b64 v[4:5], 4, v[8:9]
	v_lshl_add_u64 v[0:1], v[2:3], 0, v[4:5]
	global_load_dwordx4 v[0:3], v[0:1], off
	v_lshl_add_u64 v[4:5], v[10:11], 0, v[4:5]
	s_waitcnt vmcnt(0)
	global_store_dwordx4 v[4:5], v[0:3], off
.LBB8_49:
	s_or_b64 exec, exec, s[0:1]
	s_cmp_lg_u64 s[6:7], 0
	s_cselect_b64 s[0:1], -1, 0
	v_cmp_eq_u32_e32 vcc, 0, v8
	s_and_b64 s[0:1], s[0:1], vcc
	s_and_saveexec_b64 s[2:3], s[0:1]
	s_cbranch_execz .LBB8_51
; %bb.50:
	v_lshl_add_u64 v[0:1], v[12:13], 2, s[6:7]
	global_store_dword v[0:1], v14, off
.LBB8_51:
	s_endpgm
	.section	.rodata,"a",@progbits
	.p2align	6, 0x0
	.amdhsa_kernel _ZN4vllm24merge_attn_states_kernelI14__hip_bfloat16S1_Lj128ELb0EEEvPT0_PfPKT_PKfS7_S9_jjjjjjS9_
		.amdhsa_group_segment_fixed_size 0
		.amdhsa_private_segment_fixed_size 0
		.amdhsa_kernarg_size 80
		.amdhsa_user_sgpr_count 2
		.amdhsa_user_sgpr_dispatch_ptr 0
		.amdhsa_user_sgpr_queue_ptr 0
		.amdhsa_user_sgpr_kernarg_segment_ptr 1
		.amdhsa_user_sgpr_dispatch_id 0
		.amdhsa_user_sgpr_kernarg_preload_length 0
		.amdhsa_user_sgpr_kernarg_preload_offset 0
		.amdhsa_user_sgpr_private_segment_size 0
		.amdhsa_uses_dynamic_stack 0
		.amdhsa_enable_private_segment 0
		.amdhsa_system_sgpr_workgroup_id_x 1
		.amdhsa_system_sgpr_workgroup_id_y 0
		.amdhsa_system_sgpr_workgroup_id_z 0
		.amdhsa_system_sgpr_workgroup_info 0
		.amdhsa_system_vgpr_workitem_id 0
		.amdhsa_next_free_vgpr 28
		.amdhsa_next_free_sgpr 22
		.amdhsa_accum_offset 28
		.amdhsa_reserve_vcc 1
		.amdhsa_float_round_mode_32 0
		.amdhsa_float_round_mode_16_64 0
		.amdhsa_float_denorm_mode_32 3
		.amdhsa_float_denorm_mode_16_64 3
		.amdhsa_dx10_clamp 1
		.amdhsa_ieee_mode 1
		.amdhsa_fp16_overflow 0
		.amdhsa_tg_split 0
		.amdhsa_exception_fp_ieee_invalid_op 0
		.amdhsa_exception_fp_denorm_src 0
		.amdhsa_exception_fp_ieee_div_zero 0
		.amdhsa_exception_fp_ieee_overflow 0
		.amdhsa_exception_fp_ieee_underflow 0
		.amdhsa_exception_fp_ieee_inexact 0
		.amdhsa_exception_int_div_zero 0
	.end_amdhsa_kernel
	.section	.text._ZN4vllm24merge_attn_states_kernelI14__hip_bfloat16S1_Lj128ELb0EEEvPT0_PfPKT_PKfS7_S9_jjjjjjS9_,"axG",@progbits,_ZN4vllm24merge_attn_states_kernelI14__hip_bfloat16S1_Lj128ELb0EEEvPT0_PfPKT_PKfS7_S9_jjjjjjS9_,comdat
.Lfunc_end8:
	.size	_ZN4vllm24merge_attn_states_kernelI14__hip_bfloat16S1_Lj128ELb0EEEvPT0_PfPKT_PKfS7_S9_jjjjjjS9_, .Lfunc_end8-_ZN4vllm24merge_attn_states_kernelI14__hip_bfloat16S1_Lj128ELb0EEEvPT0_PfPKT_PKfS7_S9_jjjjjjS9_
                                        ; -- End function
	.section	.AMDGPU.csdata,"",@progbits
; Kernel info:
; codeLenInByte = 2272
; NumSgprs: 28
; NumVgprs: 28
; NumAgprs: 0
; TotalNumVgprs: 28
; ScratchSize: 0
; MemoryBound: 1
; FloatMode: 240
; IeeeMode: 1
; LDSByteSize: 0 bytes/workgroup (compile time only)
; SGPRBlocks: 3
; VGPRBlocks: 3
; NumSGPRsForWavesPerEU: 28
; NumVGPRsForWavesPerEU: 28
; AccumOffset: 28
; Occupancy: 8
; WaveLimiterHint : 0
; COMPUTE_PGM_RSRC2:SCRATCH_EN: 0
; COMPUTE_PGM_RSRC2:USER_SGPR: 2
; COMPUTE_PGM_RSRC2:TRAP_HANDLER: 0
; COMPUTE_PGM_RSRC2:TGID_X_EN: 1
; COMPUTE_PGM_RSRC2:TGID_Y_EN: 0
; COMPUTE_PGM_RSRC2:TGID_Z_EN: 0
; COMPUTE_PGM_RSRC2:TIDIG_COMP_CNT: 0
; COMPUTE_PGM_RSRC3_GFX90A:ACCUM_OFFSET: 6
; COMPUTE_PGM_RSRC3_GFX90A:TG_SPLIT: 0
	.text
	.p2alignl 6, 3212836864
	.fill 256, 4, 3212836864
	.type	__hip_cuid_49c42676513e710a,@object ; @__hip_cuid_49c42676513e710a
	.section	.bss,"aw",@nobits
	.globl	__hip_cuid_49c42676513e710a
__hip_cuid_49c42676513e710a:
	.byte	0                               ; 0x0
	.size	__hip_cuid_49c42676513e710a, 1

	.ident	"AMD clang version 19.0.0git (https://github.com/RadeonOpenCompute/llvm-project roc-6.4.0 25133 c7fe45cf4b819c5991fe208aaa96edf142730f1d)"
	.section	".note.GNU-stack","",@progbits
	.addrsig
	.addrsig_sym __hip_cuid_49c42676513e710a
	.amdgpu_metadata
---
amdhsa.kernels:
  - .agpr_count:     0
    .args:
      - .address_space:  global
        .offset:         0
        .size:           8
        .value_kind:     global_buffer
      - .address_space:  global
        .offset:         8
        .size:           8
        .value_kind:     global_buffer
      - .address_space:  global
        .offset:         16
        .size:           8
        .value_kind:     global_buffer
      - .address_space:  global
        .offset:         24
        .size:           8
        .value_kind:     global_buffer
      - .address_space:  global
        .offset:         32
        .size:           8
        .value_kind:     global_buffer
      - .address_space:  global
        .offset:         40
        .size:           8
        .value_kind:     global_buffer
      - .offset:         48
        .size:           4
        .value_kind:     by_value
      - .offset:         52
        .size:           4
        .value_kind:     by_value
      - .offset:         56
        .size:           4
        .value_kind:     by_value
      - .offset:         60
        .size:           4
        .value_kind:     by_value
      - .offset:         64
        .size:           4
        .value_kind:     by_value
      - .offset:         68
        .size:           4
        .value_kind:     by_value
      - .address_space:  global
        .offset:         72
        .size:           8
        .value_kind:     global_buffer
    .group_segment_fixed_size: 0
    .kernarg_segment_align: 8
    .kernarg_segment_size: 80
    .language:       OpenCL C
    .language_version:
      - 2
      - 0
    .max_flat_workgroup_size: 1024
    .name:           _ZN4vllm24merge_attn_states_kernelIfN3c1013Float8_e4m3fnELj128ELb1EEEvPT0_PfPKT_PKfS8_SA_jjjjjjSA_
    .private_segment_fixed_size: 0
    .sgpr_count:     30
    .sgpr_spill_count: 0
    .symbol:         _ZN4vllm24merge_attn_states_kernelIfN3c1013Float8_e4m3fnELj128ELb1EEEvPT0_PfPKT_PKfS8_SA_jjjjjjSA_.kd
    .uniform_work_group_size: 1
    .uses_dynamic_stack: false
    .vgpr_count:     30
    .vgpr_spill_count: 0
    .wavefront_size: 64
  - .agpr_count:     0
    .args:
      - .address_space:  global
        .offset:         0
        .size:           8
        .value_kind:     global_buffer
      - .address_space:  global
        .offset:         8
        .size:           8
        .value_kind:     global_buffer
      - .address_space:  global
        .offset:         16
        .size:           8
        .value_kind:     global_buffer
      - .address_space:  global
        .offset:         24
        .size:           8
        .value_kind:     global_buffer
      - .address_space:  global
        .offset:         32
        .size:           8
        .value_kind:     global_buffer
      - .address_space:  global
        .offset:         40
        .size:           8
        .value_kind:     global_buffer
      - .offset:         48
        .size:           4
        .value_kind:     by_value
      - .offset:         52
        .size:           4
        .value_kind:     by_value
      - .offset:         56
        .size:           4
        .value_kind:     by_value
      - .offset:         60
        .size:           4
        .value_kind:     by_value
      - .offset:         64
        .size:           4
        .value_kind:     by_value
      - .offset:         68
        .size:           4
        .value_kind:     by_value
      - .address_space:  global
        .offset:         72
        .size:           8
        .value_kind:     global_buffer
    .group_segment_fixed_size: 0
    .kernarg_segment_align: 8
    .kernarg_segment_size: 80
    .language:       OpenCL C
    .language_version:
      - 2
      - 0
    .max_flat_workgroup_size: 1024
    .name:           _ZN4vllm24merge_attn_states_kernelIfN3c1015Float8_e4m3fnuzELj128ELb1EEEvPT0_PfPKT_PKfS8_SA_jjjjjjSA_
    .private_segment_fixed_size: 0
    .sgpr_count:     30
    .sgpr_spill_count: 0
    .symbol:         _ZN4vllm24merge_attn_states_kernelIfN3c1015Float8_e4m3fnuzELj128ELb1EEEvPT0_PfPKT_PKfS8_SA_jjjjjjSA_.kd
    .uniform_work_group_size: 1
    .uses_dynamic_stack: false
    .vgpr_count:     34
    .vgpr_spill_count: 0
    .wavefront_size: 64
  - .agpr_count:     0
    .args:
      - .address_space:  global
        .offset:         0
        .size:           8
        .value_kind:     global_buffer
      - .address_space:  global
        .offset:         8
        .size:           8
        .value_kind:     global_buffer
      - .address_space:  global
        .offset:         16
        .size:           8
        .value_kind:     global_buffer
      - .address_space:  global
        .offset:         24
        .size:           8
        .value_kind:     global_buffer
      - .address_space:  global
        .offset:         32
        .size:           8
        .value_kind:     global_buffer
      - .address_space:  global
        .offset:         40
        .size:           8
        .value_kind:     global_buffer
      - .offset:         48
        .size:           4
        .value_kind:     by_value
      - .offset:         52
        .size:           4
        .value_kind:     by_value
      - .offset:         56
        .size:           4
        .value_kind:     by_value
      - .offset:         60
        .size:           4
        .value_kind:     by_value
      - .offset:         64
        .size:           4
        .value_kind:     by_value
      - .offset:         68
        .size:           4
        .value_kind:     by_value
      - .address_space:  global
        .offset:         72
        .size:           8
        .value_kind:     global_buffer
    .group_segment_fixed_size: 0
    .kernarg_segment_align: 8
    .kernarg_segment_size: 80
    .language:       OpenCL C
    .language_version:
      - 2
      - 0
    .max_flat_workgroup_size: 1024
    .name:           _ZN4vllm24merge_attn_states_kernelIffLj128ELb0EEEvPT0_PfPKT_PKfS6_S8_jjjjjjS8_
    .private_segment_fixed_size: 0
    .sgpr_count:     28
    .sgpr_spill_count: 0
    .symbol:         _ZN4vllm24merge_attn_states_kernelIffLj128ELb0EEEvPT0_PfPKT_PKfS6_S8_jjjjjjS8_.kd
    .uniform_work_group_size: 1
    .uses_dynamic_stack: false
    .vgpr_count:     27
    .vgpr_spill_count: 0
    .wavefront_size: 64
  - .agpr_count:     0
    .args:
      - .address_space:  global
        .offset:         0
        .size:           8
        .value_kind:     global_buffer
      - .address_space:  global
        .offset:         8
        .size:           8
        .value_kind:     global_buffer
      - .address_space:  global
        .offset:         16
        .size:           8
        .value_kind:     global_buffer
      - .address_space:  global
        .offset:         24
        .size:           8
        .value_kind:     global_buffer
      - .address_space:  global
        .offset:         32
        .size:           8
        .value_kind:     global_buffer
      - .address_space:  global
        .offset:         40
        .size:           8
        .value_kind:     global_buffer
      - .offset:         48
        .size:           4
        .value_kind:     by_value
      - .offset:         52
        .size:           4
        .value_kind:     by_value
      - .offset:         56
        .size:           4
        .value_kind:     by_value
      - .offset:         60
        .size:           4
        .value_kind:     by_value
      - .offset:         64
        .size:           4
        .value_kind:     by_value
      - .offset:         68
        .size:           4
        .value_kind:     by_value
      - .address_space:  global
        .offset:         72
        .size:           8
        .value_kind:     global_buffer
    .group_segment_fixed_size: 0
    .kernarg_segment_align: 8
    .kernarg_segment_size: 80
    .language:       OpenCL C
    .language_version:
      - 2
      - 0
    .max_flat_workgroup_size: 1024
    .name:           _ZN4vllm24merge_attn_states_kernelItN3c1013Float8_e4m3fnELj128ELb1EEEvPT0_PfPKT_PKfS8_SA_jjjjjjSA_
    .private_segment_fixed_size: 0
    .sgpr_count:     30
    .sgpr_spill_count: 0
    .symbol:         _ZN4vllm24merge_attn_states_kernelItN3c1013Float8_e4m3fnELj128ELb1EEEvPT0_PfPKT_PKfS8_SA_jjjjjjSA_.kd
    .uniform_work_group_size: 1
    .uses_dynamic_stack: false
    .vgpr_count:     35
    .vgpr_spill_count: 0
    .wavefront_size: 64
  - .agpr_count:     0
    .args:
      - .address_space:  global
        .offset:         0
        .size:           8
        .value_kind:     global_buffer
      - .address_space:  global
        .offset:         8
        .size:           8
        .value_kind:     global_buffer
      - .address_space:  global
        .offset:         16
        .size:           8
        .value_kind:     global_buffer
      - .address_space:  global
        .offset:         24
        .size:           8
        .value_kind:     global_buffer
      - .address_space:  global
        .offset:         32
        .size:           8
        .value_kind:     global_buffer
      - .address_space:  global
        .offset:         40
        .size:           8
        .value_kind:     global_buffer
      - .offset:         48
        .size:           4
        .value_kind:     by_value
      - .offset:         52
        .size:           4
        .value_kind:     by_value
      - .offset:         56
        .size:           4
        .value_kind:     by_value
      - .offset:         60
        .size:           4
        .value_kind:     by_value
      - .offset:         64
        .size:           4
        .value_kind:     by_value
      - .offset:         68
        .size:           4
        .value_kind:     by_value
      - .address_space:  global
        .offset:         72
        .size:           8
        .value_kind:     global_buffer
    .group_segment_fixed_size: 0
    .kernarg_segment_align: 8
    .kernarg_segment_size: 80
    .language:       OpenCL C
    .language_version:
      - 2
      - 0
    .max_flat_workgroup_size: 1024
    .name:           _ZN4vllm24merge_attn_states_kernelItN3c1015Float8_e4m3fnuzELj128ELb1EEEvPT0_PfPKT_PKfS8_SA_jjjjjjSA_
    .private_segment_fixed_size: 0
    .sgpr_count:     30
    .sgpr_spill_count: 0
    .symbol:         _ZN4vllm24merge_attn_states_kernelItN3c1015Float8_e4m3fnuzELj128ELb1EEEvPT0_PfPKT_PKfS8_SA_jjjjjjSA_.kd
    .uniform_work_group_size: 1
    .uses_dynamic_stack: false
    .vgpr_count:     31
    .vgpr_spill_count: 0
    .wavefront_size: 64
  - .agpr_count:     0
    .args:
      - .address_space:  global
        .offset:         0
        .size:           8
        .value_kind:     global_buffer
      - .address_space:  global
        .offset:         8
        .size:           8
        .value_kind:     global_buffer
      - .address_space:  global
        .offset:         16
        .size:           8
        .value_kind:     global_buffer
      - .address_space:  global
        .offset:         24
        .size:           8
        .value_kind:     global_buffer
      - .address_space:  global
        .offset:         32
        .size:           8
        .value_kind:     global_buffer
      - .address_space:  global
        .offset:         40
        .size:           8
        .value_kind:     global_buffer
      - .offset:         48
        .size:           4
        .value_kind:     by_value
      - .offset:         52
        .size:           4
        .value_kind:     by_value
      - .offset:         56
        .size:           4
        .value_kind:     by_value
      - .offset:         60
        .size:           4
        .value_kind:     by_value
      - .offset:         64
        .size:           4
        .value_kind:     by_value
      - .offset:         68
        .size:           4
        .value_kind:     by_value
      - .address_space:  global
        .offset:         72
        .size:           8
        .value_kind:     global_buffer
    .group_segment_fixed_size: 0
    .kernarg_segment_align: 8
    .kernarg_segment_size: 80
    .language:       OpenCL C
    .language_version:
      - 2
      - 0
    .max_flat_workgroup_size: 1024
    .name:           _ZN4vllm24merge_attn_states_kernelIttLj128ELb0EEEvPT0_PfPKT_PKfS6_S8_jjjjjjS8_
    .private_segment_fixed_size: 0
    .sgpr_count:     28
    .sgpr_spill_count: 0
    .symbol:         _ZN4vllm24merge_attn_states_kernelIttLj128ELb0EEEvPT0_PfPKT_PKfS6_S8_jjjjjjS8_.kd
    .uniform_work_group_size: 1
    .uses_dynamic_stack: false
    .vgpr_count:     29
    .vgpr_spill_count: 0
    .wavefront_size: 64
  - .agpr_count:     0
    .args:
      - .address_space:  global
        .offset:         0
        .size:           8
        .value_kind:     global_buffer
      - .address_space:  global
        .offset:         8
        .size:           8
        .value_kind:     global_buffer
      - .address_space:  global
        .offset:         16
        .size:           8
        .value_kind:     global_buffer
      - .address_space:  global
        .offset:         24
        .size:           8
        .value_kind:     global_buffer
      - .address_space:  global
        .offset:         32
        .size:           8
        .value_kind:     global_buffer
      - .address_space:  global
        .offset:         40
        .size:           8
        .value_kind:     global_buffer
      - .offset:         48
        .size:           4
        .value_kind:     by_value
      - .offset:         52
        .size:           4
        .value_kind:     by_value
      - .offset:         56
        .size:           4
        .value_kind:     by_value
      - .offset:         60
        .size:           4
        .value_kind:     by_value
      - .offset:         64
        .size:           4
        .value_kind:     by_value
      - .offset:         68
        .size:           4
        .value_kind:     by_value
      - .address_space:  global
        .offset:         72
        .size:           8
        .value_kind:     global_buffer
    .group_segment_fixed_size: 0
    .kernarg_segment_align: 8
    .kernarg_segment_size: 80
    .language:       OpenCL C
    .language_version:
      - 2
      - 0
    .max_flat_workgroup_size: 1024
    .name:           _ZN4vllm24merge_attn_states_kernelI14__hip_bfloat16N3c1013Float8_e4m3fnELj128ELb1EEEvPT0_PfPKT_PKfS9_SB_jjjjjjSB_
    .private_segment_fixed_size: 0
    .sgpr_count:     30
    .sgpr_spill_count: 0
    .symbol:         _ZN4vllm24merge_attn_states_kernelI14__hip_bfloat16N3c1013Float8_e4m3fnELj128ELb1EEEvPT0_PfPKT_PKfS9_SB_jjjjjjSB_.kd
    .uniform_work_group_size: 1
    .uses_dynamic_stack: false
    .vgpr_count:     30
    .vgpr_spill_count: 0
    .wavefront_size: 64
  - .agpr_count:     0
    .args:
      - .address_space:  global
        .offset:         0
        .size:           8
        .value_kind:     global_buffer
      - .address_space:  global
        .offset:         8
        .size:           8
        .value_kind:     global_buffer
      - .address_space:  global
        .offset:         16
        .size:           8
        .value_kind:     global_buffer
      - .address_space:  global
        .offset:         24
        .size:           8
        .value_kind:     global_buffer
      - .address_space:  global
        .offset:         32
        .size:           8
        .value_kind:     global_buffer
      - .address_space:  global
        .offset:         40
        .size:           8
        .value_kind:     global_buffer
      - .offset:         48
        .size:           4
        .value_kind:     by_value
      - .offset:         52
        .size:           4
        .value_kind:     by_value
      - .offset:         56
        .size:           4
        .value_kind:     by_value
      - .offset:         60
        .size:           4
        .value_kind:     by_value
      - .offset:         64
        .size:           4
        .value_kind:     by_value
      - .offset:         68
        .size:           4
        .value_kind:     by_value
      - .address_space:  global
        .offset:         72
        .size:           8
        .value_kind:     global_buffer
    .group_segment_fixed_size: 0
    .kernarg_segment_align: 8
    .kernarg_segment_size: 80
    .language:       OpenCL C
    .language_version:
      - 2
      - 0
    .max_flat_workgroup_size: 1024
    .name:           _ZN4vllm24merge_attn_states_kernelI14__hip_bfloat16N3c1015Float8_e4m3fnuzELj128ELb1EEEvPT0_PfPKT_PKfS9_SB_jjjjjjSB_
    .private_segment_fixed_size: 0
    .sgpr_count:     30
    .sgpr_spill_count: 0
    .symbol:         _ZN4vllm24merge_attn_states_kernelI14__hip_bfloat16N3c1015Float8_e4m3fnuzELj128ELb1EEEvPT0_PfPKT_PKfS9_SB_jjjjjjSB_.kd
    .uniform_work_group_size: 1
    .uses_dynamic_stack: false
    .vgpr_count:     33
    .vgpr_spill_count: 0
    .wavefront_size: 64
  - .agpr_count:     0
    .args:
      - .address_space:  global
        .offset:         0
        .size:           8
        .value_kind:     global_buffer
      - .address_space:  global
        .offset:         8
        .size:           8
        .value_kind:     global_buffer
      - .address_space:  global
        .offset:         16
        .size:           8
        .value_kind:     global_buffer
      - .address_space:  global
        .offset:         24
        .size:           8
        .value_kind:     global_buffer
      - .address_space:  global
        .offset:         32
        .size:           8
        .value_kind:     global_buffer
      - .address_space:  global
        .offset:         40
        .size:           8
        .value_kind:     global_buffer
      - .offset:         48
        .size:           4
        .value_kind:     by_value
      - .offset:         52
        .size:           4
        .value_kind:     by_value
      - .offset:         56
        .size:           4
        .value_kind:     by_value
      - .offset:         60
        .size:           4
        .value_kind:     by_value
      - .offset:         64
        .size:           4
        .value_kind:     by_value
      - .offset:         68
        .size:           4
        .value_kind:     by_value
      - .address_space:  global
        .offset:         72
        .size:           8
        .value_kind:     global_buffer
    .group_segment_fixed_size: 0
    .kernarg_segment_align: 8
    .kernarg_segment_size: 80
    .language:       OpenCL C
    .language_version:
      - 2
      - 0
    .max_flat_workgroup_size: 1024
    .name:           _ZN4vllm24merge_attn_states_kernelI14__hip_bfloat16S1_Lj128ELb0EEEvPT0_PfPKT_PKfS7_S9_jjjjjjS9_
    .private_segment_fixed_size: 0
    .sgpr_count:     28
    .sgpr_spill_count: 0
    .symbol:         _ZN4vllm24merge_attn_states_kernelI14__hip_bfloat16S1_Lj128ELb0EEEvPT0_PfPKT_PKfS7_S9_jjjjjjS9_.kd
    .uniform_work_group_size: 1
    .uses_dynamic_stack: false
    .vgpr_count:     28
    .vgpr_spill_count: 0
    .wavefront_size: 64
amdhsa.target:   amdgcn-amd-amdhsa--gfx942
amdhsa.version:
  - 1
  - 2
...

	.end_amdgpu_metadata
